;; amdgpu-corpus repo=zjin-lcf/HeCBench kind=compiled arch=gfx90a opt=O3
	.text
	.amdgcn_target "amdgcn-amd-amdhsa--gfx90a"
	.amdhsa_code_object_version 6
	.section	.text._ZL11MPCcompressILi64EEviPlS0_PVih,"axG",@progbits,_ZL11MPCcompressILi64EEviPlS0_PVih,comdat
	.globl	_ZL11MPCcompressILi64EEviPlS0_PVih ; -- Begin function _ZL11MPCcompressILi64EEviPlS0_PVih
	.p2align	8
	.type	_ZL11MPCcompressILi64EEviPlS0_PVih,@function
_ZL11MPCcompressILi64EEviPlS0_PVih:     ; @_ZL11MPCcompressILi64EEviPlS0_PVih
; %bb.0:
	s_load_dword s33, s[4:5], 0x0
	s_movk_i32 s7, 0x3ff
	s_waitcnt lgkmcnt(0)
	s_add_i32 s0, s33, 0x3ff
	s_ashr_i32 s1, s0, 31
	s_lshr_b32 s1, s1, 22
	s_add_i32 s0, s0, s1
	s_ashr_i32 s42, s0, 10
	s_cmp_ge_i32 s6, s42
	s_cbranch_scc1 .LBB0_29
; %bb.1:
	s_add_i32 s1, s33, 63
	s_load_dwordx4 s[36:39], s[4:5], 0x8
	s_load_dwordx2 s[24:25], s[4:5], 0x18
	s_load_dword s0, s[4:5], 0x20
	s_load_dword s43, s[4:5], 0x28
	s_ashr_i32 s2, s1, 31
	s_lshr_b32 s2, s2, 26
	s_add_i32 s1, s1, s2
	s_ashr_i32 s44, s1, 6
	s_add_i32 s44, s44, 1
	s_add_i32 s45, s42, -1
	s_add_i32 s1, s6, 1
	s_waitcnt lgkmcnt(0)
	s_cmp_lg_u32 s1, s43
	s_cselect_b32 s26, s1, 0
	s_and_b32 s40, s0, 0xff
	v_subrev_u32_e32 v3, s40, v0
	v_lshlrev_b32_e32 v7, 3, v3
	v_mbcnt_lo_u32_b32 v3, -1, 0
	v_mbcnt_hi_u32_b32 v3, -1, v3
	v_and_b32_e32 v4, 64, v3
	v_add_u32_e32 v5, -1, v3
	v_cmp_lt_i32_e64 s[2:3], v5, v4
	v_cndmask_b32_e64 v5, v5, v3, s[2:3]
	v_lshlrev_b32_e32 v18, 2, v5
	v_add_u32_e32 v5, -2, v3
	v_cmp_lt_i32_e64 s[4:5], v5, v4
	v_cndmask_b32_e64 v5, v5, v3, s[4:5]
	v_lshlrev_b32_e32 v19, 2, v5
	;; [unrolled: 4-line block ×3, first 2 shown]
	v_add_u32_e32 v5, -8, v3
	v_cmp_lt_i32_e64 s[10:11], v5, v4
	v_cmp_eq_u32_e64 s[22:23], s7, v0
	s_ashr_i32 s7, s6, 31
	v_cndmask_b32_e64 v5, v5, v3, s[10:11]
	s_lshl_b64 s[28:29], s[6:7], 2
	v_lshlrev_b32_e32 v21, 2, v5
	v_add_u32_e32 v5, -16, v3
	s_add_u32 s30, s24, s28
	v_cmp_lt_i32_e64 s[12:13], v5, v4
	s_addc_u32 s31, s25, s29
	s_ashr_i32 s27, s26, 31
	v_cndmask_b32_e64 v5, v5, v3, s[12:13]
	s_lshl_b64 s[26:27], s[26:27], 2
	v_lshlrev_b32_e32 v22, 2, v5
	v_subrev_u32_e32 v5, 32, v3
	s_add_u32 s34, s24, s26
	v_cmp_lt_i32_e64 s[14:15], v5, v4
	s_addc_u32 s35, s25, s27
	v_cndmask_b32_e64 v3, v5, v3, s[14:15]
	s_add_u32 s7, s40, 0x43504cff
	v_lshlrev_b32_e32 v23, 2, v3
	v_lshrrev_b32_e32 v3, 4, v0
	s_addc_u32 s46, 0, 0
	v_and_b32_e32 v2, 0x3c0, v0
	v_and_b32_e32 v6, 63, v0
	v_lshlrev_b32_e32 v1, 3, v0
	v_and_b32_e32 v24, 60, v3
	v_mov_b32_e32 v3, 0x2000
	s_add_u32 s47, s38, 8
	v_cmp_gt_u32_e32 vcc, s40, v0
	v_or_b32_e32 v16, 0x2000, v1
	v_mov_b32_e32 v9, 0
	v_cmp_ne_u32_e64 s[0:1], 0, v0
	v_add_u32_e32 v17, -8, v1
	v_cmp_eq_u32_e64 s[2:3], 0, v6
	v_cmp_lt_u32_e64 s[4:5], 1, v6
	v_cmp_lt_u32_e64 s[8:9], 3, v6
	;; [unrolled: 1-line block ×5, first 2 shown]
	v_cmp_eq_u32_e64 s[16:17], 63, v6
	v_cmp_gt_u32_e64 s[18:19], 64, v0
	v_cmp_lt_u32_e64 s[20:21], 63, v0
	v_lshlrev_b32_e32 v25, 2, v6
	v_add_u32_e32 v26, -4, v24
	v_or_b32_e32 v27, 0x21f8, v1
	v_lshl_or_b32 v28, v2, 3, v3
	s_addc_u32 s48, s39, 0
	v_mov_b32_e32 v29, -1
	s_branch .LBB0_3
.LBB0_2:                                ;   in Loop: Header=BB0_3 Depth=1
	s_or_b64 exec, exec, s[26:27]
	s_add_i32 s6, s6, s43
	s_cmp_ge_i32 s6, s42
	s_cbranch_scc1 .LBB0_29
.LBB0_3:                                ; =>This Loop Header: Depth=1
                                        ;     Child Loop BB0_22 Depth 2
	v_lshl_or_b32 v10, s6, 10, v0
	v_cmp_le_i32_e64 s[26:27], s33, v10
	v_cmp_gt_i32_e64 s[24:25], s33, v10
	v_pk_mov_b32 v[2:3], 0, 0
	v_ashrrev_i32_e32 v11, 31, v10
	s_and_saveexec_b64 s[40:41], s[24:25]
	s_cbranch_execz .LBB0_5
; %bb.4:                                ;   in Loop: Header=BB0_3 Depth=1
	v_lshlrev_b64 v[2:3], 3, v[10:11]
	v_mov_b32_e32 v4, s37
	v_add_co_u32_e64 v2, s[28:29], s36, v2
	v_addc_co_u32_e64 v3, s[28:29], v4, v3, s[28:29]
	global_load_dwordx2 v[2:3], v[2:3], off
	s_waitcnt vmcnt(0)
	ds_write_b64 v1, v[2:3]
.LBB0_5:                                ;   in Loop: Header=BB0_3 Depth=1
	s_or_b64 exec, exec, s[40:41]
	s_or_b64 s[26:27], vcc, s[26:27]
	s_xor_b64 s[26:27], s[26:27], -1
	s_waitcnt lgkmcnt(0)
	s_barrier
	s_and_saveexec_b64 s[28:29], s[26:27]
	s_cbranch_execz .LBB0_7
; %bb.6:                                ;   in Loop: Header=BB0_3 Depth=1
	ds_read_b64 v[4:5], v7
	s_waitcnt lgkmcnt(0)
	v_sub_co_u32_e64 v2, s[26:27], v2, v4
	v_subb_co_u32_e64 v3, s[26:27], v3, v5, s[26:27]
.LBB0_7:                                ;   in Loop: Header=BB0_3 Depth=1
	s_or_b64 exec, exec, s[28:29]
	ds_write_b64 v16, v[2:3]
	s_waitcnt lgkmcnt(0)
	s_barrier
	ds_read_b64 v[12:13], v27
	ds_read_b64 v[14:15], v28 offset:496
	ds_read_b128 v[2:5], v28
	ds_read_b128 v[30:33], v28 offset:480
	s_waitcnt lgkmcnt(3)
	v_lshrrev_b64 v[12:13], v6, v[12:13]
	v_lshlrev_b32_e32 v8, 1, v12
	v_and_b32_e32 v8, 2, v8
	s_waitcnt lgkmcnt(2)
	v_lshrrev_b64 v[12:13], v6, v[14:15]
	v_and_or_b32 v8, v12, 1, v8
	ds_read_b128 v[12:15], v28 offset:464
	s_waitcnt lgkmcnt(1)
	v_lshrrev_b64 v[32:33], v6, v[32:33]
	v_lshlrev_b32_e32 v32, 1, v32
	v_and_b32_e32 v32, 2, v32
	v_lshl_or_b32 v8, v8, 2, v32
	v_lshrrev_b64 v[30:31], v6, v[30:31]
	v_and_or_b32 v8, v30, 1, v8
	ds_read_b128 v[30:33], v28 offset:448
	s_waitcnt lgkmcnt(1)
	v_lshrrev_b64 v[14:15], v6, v[14:15]
	v_lshlrev_b32_e32 v14, 1, v14
	v_and_b32_e32 v14, 2, v14
	v_lshl_or_b32 v8, v8, 2, v14
	v_lshrrev_b64 v[12:13], v6, v[12:13]
	v_and_or_b32 v8, v12, 1, v8
	ds_read_b128 v[12:15], v28 offset:432
	s_waitcnt lgkmcnt(1)
	v_lshrrev_b64 v[32:33], v6, v[32:33]
	v_lshlrev_b64 v[34:35], 2, v[8:9]
	v_lshlrev_b32_e32 v8, 1, v32
	v_lshrrev_b64 v[30:31], v6, v[30:31]
	v_and_or_b32 v8, v8, 2, v34
	v_and_b32_e32 v30, 1, v30
	v_or_b32_e32 v34, v30, v8
	ds_read_b128 v[30:33], v28 offset:416
	s_waitcnt lgkmcnt(1)
	v_lshrrev_b64 v[14:15], v6, v[14:15]
	v_lshlrev_b64 v[34:35], 2, v[34:35]
	v_lshlrev_b32_e32 v8, 1, v14
	v_lshrrev_b64 v[12:13], v6, v[12:13]
	v_and_or_b32 v8, v8, 2, v34
	v_and_b32_e32 v12, 1, v12
	v_or_b32_e32 v34, v12, v8
	;; [unrolled: 9-line block ×25, first 2 shown]
	ds_read_b128 v[30:33], v28 offset:16
	ds_read_b128 v[34:37], v28 offset:32
	s_waitcnt lgkmcnt(2)
	v_lshrrev_b64 v[14:15], v6, v[14:15]
	v_lshlrev_b64 v[38:39], 2, v[38:39]
	v_lshlrev_b32_e32 v8, 1, v14
	v_lshrrev_b64 v[12:13], v6, v[12:13]
	v_and_or_b32 v8, v8, 2, v38
	v_and_b32_e32 v12, 1, v12
	v_or_b32_e32 v38, v12, v8
	s_waitcnt lgkmcnt(0)
	v_lshrrev_b64 v[12:13], v6, v[36:37]
	v_lshlrev_b64 v[14:15], 2, v[38:39]
	v_lshlrev_b32_e32 v8, 1, v12
	v_lshrrev_b64 v[12:13], v6, v[34:35]
	v_and_or_b32 v8, v8, 2, v14
	v_and_b32_e32 v12, 1, v12
	v_or_b32_e32 v14, v12, v8
	v_lshrrev_b64 v[12:13], v6, v[32:33]
	v_lshlrev_b64 v[14:15], 2, v[14:15]
	v_lshlrev_b32_e32 v8, 1, v12
	v_lshrrev_b64 v[12:13], v6, v[30:31]
	v_and_or_b32 v8, v8, 2, v14
	v_and_b32_e32 v12, 1, v12
	v_or_b32_e32 v14, v12, v8
	v_lshrrev_b64 v[12:13], v6, v[4:5]
	v_lshlrev_b64 v[4:5], 2, v[14:15]
	v_lshlrev_b32_e32 v8, 1, v12
	v_lshrrev_b64 v[2:3], v6, v[2:3]
	v_and_or_b32 v4, v8, 2, v4
	v_and_b32_e32 v2, 1, v2
	v_or_b32_e32 v4, v2, v4
	ds_write_b64 v1, v[4:5]
	s_waitcnt lgkmcnt(0)
	s_barrier
	s_and_saveexec_b64 s[28:29], s[0:1]
	s_cbranch_execz .LBB0_9
; %bb.8:                                ;   in Loop: Header=BB0_3 Depth=1
	ds_read_b64 v[2:3], v17
	s_waitcnt lgkmcnt(0)
	v_sub_co_u32_e64 v4, s[26:27], v4, v2
	v_subb_co_u32_e64 v5, s[26:27], v5, v3, s[26:27]
.LBB0_9:                                ;   in Loop: Header=BB0_3 Depth=1
	s_or_b64 exec, exec, s[28:29]
	v_cmp_ne_u64_e64 s[26:27], 0, v[4:5]
	s_and_saveexec_b64 s[28:29], s[24:25]
	s_cbranch_execz .LBB0_11
; %bb.10:                               ;   in Loop: Header=BB0_3 Depth=1
	v_lshrrev_b32_e32 v2, 26, v11
	v_add_u32_e32 v2, v10, v2
	v_ashrrev_i32_e32 v2, 6, v2
	v_ashrrev_i32_e32 v3, 31, v2
	v_lshlrev_b64 v[2:3], 3, v[2:3]
	v_mov_b32_e32 v8, s48
	v_add_co_u32_e64 v2, s[24:25], s47, v2
	v_addc_co_u32_e64 v3, s[24:25], v8, v3, s[24:25]
	v_pk_mov_b32 v[10:11], s[26:27], s[26:27] op_sel:[0,1]
	global_store_dwordx2 v[2:3], v[10:11], off
.LBB0_11:                               ;   in Loop: Header=BB0_3 Depth=1
	s_or_b64 exec, exec, s[28:29]
	v_cndmask_b32_e64 v2, 0, 1, s[26:27]
	ds_bpermute_b32 v3, v18, v2
	s_waitcnt lgkmcnt(0)
	v_cndmask_b32_e64 v3, v3, 0, s[2:3]
	v_add_u32_e32 v3, v3, v2
	ds_bpermute_b32 v8, v19, v3
	s_waitcnt lgkmcnt(0)
	v_cndmask_b32_e64 v8, 0, v8, s[4:5]
	v_add_u32_e32 v3, v3, v8
	ds_bpermute_b32 v8, v20, v3
	s_waitcnt lgkmcnt(0)
	v_cndmask_b32_e64 v8, 0, v8, s[8:9]
	v_add_u32_e32 v3, v3, v8
	ds_bpermute_b32 v8, v21, v3
	s_waitcnt lgkmcnt(0)
	v_cndmask_b32_e64 v8, 0, v8, s[10:11]
	v_add_u32_e32 v3, v3, v8
	ds_bpermute_b32 v8, v22, v3
	s_waitcnt lgkmcnt(0)
	v_cndmask_b32_e64 v8, 0, v8, s[12:13]
	v_add_u32_e32 v3, v3, v8
	ds_bpermute_b32 v8, v23, v3
	s_waitcnt lgkmcnt(0)
	v_cndmask_b32_e64 v8, 0, v8, s[14:15]
	v_add_u32_e32 v3, v3, v8
	s_and_saveexec_b64 s[24:25], s[16:17]
	s_cbranch_execz .LBB0_13
; %bb.12:                               ;   in Loop: Header=BB0_3 Depth=1
	ds_write_b32 v24, v3
.LBB0_13:                               ;   in Loop: Header=BB0_3 Depth=1
	s_or_b64 exec, exec, s[24:25]
	s_waitcnt lgkmcnt(0)
	s_barrier
	s_and_saveexec_b64 s[24:25], s[18:19]
	s_cbranch_execz .LBB0_15
; %bb.14:                               ;   in Loop: Header=BB0_3 Depth=1
	ds_read_b32 v8, v25
	s_waitcnt lgkmcnt(0)
	ds_bpermute_b32 v10, v18, v8
	s_waitcnt lgkmcnt(0)
	v_cndmask_b32_e64 v10, v10, 0, s[2:3]
	v_add_u32_e32 v8, v10, v8
	ds_bpermute_b32 v10, v19, v8
	s_waitcnt lgkmcnt(0)
	v_cndmask_b32_e64 v10, 0, v10, s[4:5]
	v_add_u32_e32 v8, v10, v8
	;; [unrolled: 4-line block ×6, first 2 shown]
	ds_write_b32 v25, v8
.LBB0_15:                               ;   in Loop: Header=BB0_3 Depth=1
	s_or_b64 exec, exec, s[24:25]
	v_cndmask_b32_e64 v2, v3, v2, s[2:3]
	s_waitcnt lgkmcnt(0)
	s_barrier
	s_and_saveexec_b64 s[24:25], s[20:21]
	s_cbranch_execnz .LBB0_18
; %bb.16:                               ;   in Loop: Header=BB0_3 Depth=1
	s_or_b64 exec, exec, s[24:25]
	s_and_saveexec_b64 s[24:25], s[26:27]
	s_cbranch_execnz .LBB0_19
.LBB0_17:                               ;   in Loop: Header=BB0_3 Depth=1
	s_or_b64 exec, exec, s[24:25]
	s_and_saveexec_b64 s[26:27], s[22:23]
	s_cbranch_execnz .LBB0_20
	s_branch .LBB0_27
.LBB0_18:                               ;   in Loop: Header=BB0_3 Depth=1
	ds_read_b32 v3, v26
	s_waitcnt lgkmcnt(0)
	v_add_u32_e32 v2, v3, v2
	s_or_b64 exec, exec, s[24:25]
	s_and_saveexec_b64 s[24:25], s[26:27]
	s_cbranch_execz .LBB0_17
.LBB0_19:                               ;   in Loop: Header=BB0_3 Depth=1
	v_lshlrev_b32_e32 v3, 3, v2
	ds_write_b64 v3, v[4:5] offset:8184
	s_or_b64 exec, exec, s[24:25]
	s_and_saveexec_b64 s[26:27], s[22:23]
	s_cbranch_execz .LBB0_27
.LBB0_20:                               ;   in Loop: Header=BB0_3 Depth=1
	s_cmp_lt_i32 s6, 1
	v_mov_b32_e32 v3, s44
	s_cbranch_scc1 .LBB0_24
; %bb.21:                               ;   in Loop: Header=BB0_3 Depth=1
	s_mov_b64 s[28:29], 0
.LBB0_22:                               ;   Parent Loop BB0_3 Depth=1
                                        ; =>  This Inner Loop Header: Depth=2
	v_pk_mov_b32 v[4:5], s[30:31], s[30:31] op_sel:[0,1]
	flat_load_dword v3, v[4:5] glc
	s_waitcnt vmcnt(0) lgkmcnt(0)
	v_cmp_lt_i32_e64 s[24:25], -1, v3
	s_or_b64 s[28:29], s[24:25], s[28:29]
	s_andn2_b64 exec, exec, s[28:29]
	s_cbranch_execnz .LBB0_22
; %bb.23:                               ;   in Loop: Header=BB0_3 Depth=1
	s_or_b64 exec, exec, s[28:29]
.LBB0_24:                               ;   in Loop: Header=BB0_3 Depth=1
	v_add_u32_e32 v4, v3, v2
	v_pk_mov_b32 v[10:11], s[34:35], s[34:35] op_sel:[0,1]
	flat_store_dword v[10:11], v4
	s_waitcnt vmcnt(0)
	v_pk_mov_b32 v[10:11], s[30:31], s[30:31] op_sel:[0,1]
	s_cmp_lg_u32 s6, s45
	flat_store_dword v[10:11], v29
	s_waitcnt vmcnt(0)
	s_cbranch_scc1 .LBB0_26
; %bb.25:                               ;   in Loop: Header=BB0_3 Depth=1
	v_or_b32_e32 v5, s46, v4
	v_mov_b32_e32 v4, s7
	global_store_dwordx2 v9, v[4:5], s[38:39]
.LBB0_26:                               ;   in Loop: Header=BB0_3 Depth=1
	ds_write_b64 v9, v[2:3] offset:16384
.LBB0_27:                               ;   in Loop: Header=BB0_3 Depth=1
	s_or_b64 exec, exec, s[26:27]
	s_waitcnt lgkmcnt(0)
	s_barrier
	ds_read_b32 v2, v9 offset:16384
	s_waitcnt lgkmcnt(0)
	v_cmp_lt_i32_e64 s[24:25], v0, v2
	s_and_saveexec_b64 s[26:27], s[24:25]
	s_cbranch_execz .LBB0_2
; %bb.28:                               ;   in Loop: Header=BB0_3 Depth=1
	ds_read_b32 v4, v9 offset:16388
	ds_read_b64 v[2:3], v16
	v_mov_b32_e32 v8, s39
	s_waitcnt lgkmcnt(1)
	v_add_u32_e32 v4, v4, v0
	v_ashrrev_i32_e32 v5, 31, v4
	v_lshlrev_b64 v[4:5], 3, v[4:5]
	v_add_co_u32_e64 v4, s[24:25], s38, v4
	v_addc_co_u32_e64 v5, s[24:25], v8, v5, s[24:25]
	s_waitcnt lgkmcnt(0)
	global_store_dwordx2 v[4:5], v[2:3], off
	s_branch .LBB0_2
.LBB0_29:
	s_endpgm
	.section	.rodata,"a",@progbits
	.p2align	6, 0x0
	.amdhsa_kernel _ZL11MPCcompressILi64EEviPlS0_PVih
		.amdhsa_group_segment_fixed_size 16392
		.amdhsa_private_segment_fixed_size 0
		.amdhsa_kernarg_size 296
		.amdhsa_user_sgpr_count 6
		.amdhsa_user_sgpr_private_segment_buffer 1
		.amdhsa_user_sgpr_dispatch_ptr 0
		.amdhsa_user_sgpr_queue_ptr 0
		.amdhsa_user_sgpr_kernarg_segment_ptr 1
		.amdhsa_user_sgpr_dispatch_id 0
		.amdhsa_user_sgpr_flat_scratch_init 0
		.amdhsa_user_sgpr_kernarg_preload_length 0
		.amdhsa_user_sgpr_kernarg_preload_offset 0
		.amdhsa_user_sgpr_private_segment_size 0
		.amdhsa_uses_dynamic_stack 0
		.amdhsa_system_sgpr_private_segment_wavefront_offset 0
		.amdhsa_system_sgpr_workgroup_id_x 1
		.amdhsa_system_sgpr_workgroup_id_y 0
		.amdhsa_system_sgpr_workgroup_id_z 0
		.amdhsa_system_sgpr_workgroup_info 0
		.amdhsa_system_vgpr_workitem_id 0
		.amdhsa_next_free_vgpr 40
		.amdhsa_next_free_sgpr 49
		.amdhsa_accum_offset 40
		.amdhsa_reserve_vcc 1
		.amdhsa_reserve_flat_scratch 0
		.amdhsa_float_round_mode_32 0
		.amdhsa_float_round_mode_16_64 0
		.amdhsa_float_denorm_mode_32 3
		.amdhsa_float_denorm_mode_16_64 3
		.amdhsa_dx10_clamp 1
		.amdhsa_ieee_mode 1
		.amdhsa_fp16_overflow 0
		.amdhsa_tg_split 0
		.amdhsa_exception_fp_ieee_invalid_op 0
		.amdhsa_exception_fp_denorm_src 0
		.amdhsa_exception_fp_ieee_div_zero 0
		.amdhsa_exception_fp_ieee_overflow 0
		.amdhsa_exception_fp_ieee_underflow 0
		.amdhsa_exception_fp_ieee_inexact 0
		.amdhsa_exception_int_div_zero 0
	.end_amdhsa_kernel
	.section	.text._ZL11MPCcompressILi64EEviPlS0_PVih,"axG",@progbits,_ZL11MPCcompressILi64EEviPlS0_PVih,comdat
.Lfunc_end0:
	.size	_ZL11MPCcompressILi64EEviPlS0_PVih, .Lfunc_end0-_ZL11MPCcompressILi64EEviPlS0_PVih
                                        ; -- End function
	.section	.AMDGPU.csdata,"",@progbits
; Kernel info:
; codeLenInByte = 3336
; NumSgprs: 53
; NumVgprs: 40
; NumAgprs: 0
; TotalNumVgprs: 40
; ScratchSize: 0
; MemoryBound: 0
; FloatMode: 240
; IeeeMode: 1
; LDSByteSize: 16392 bytes/workgroup (compile time only)
; SGPRBlocks: 6
; VGPRBlocks: 4
; NumSGPRsForWavesPerEU: 53
; NumVGPRsForWavesPerEU: 40
; AccumOffset: 40
; Occupancy: 8
; WaveLimiterHint : 0
; COMPUTE_PGM_RSRC2:SCRATCH_EN: 0
; COMPUTE_PGM_RSRC2:USER_SGPR: 6
; COMPUTE_PGM_RSRC2:TRAP_HANDLER: 0
; COMPUTE_PGM_RSRC2:TGID_X_EN: 1
; COMPUTE_PGM_RSRC2:TGID_Y_EN: 0
; COMPUTE_PGM_RSRC2:TGID_Z_EN: 0
; COMPUTE_PGM_RSRC2:TIDIG_COMP_CNT: 0
; COMPUTE_PGM_RSRC3_GFX90A:ACCUM_OFFSET: 9
; COMPUTE_PGM_RSRC3_GFX90A:TG_SPLIT: 0
	.section	.text._ZL11MPCcompressILi32EEviPlS0_PVih,"axG",@progbits,_ZL11MPCcompressILi32EEviPlS0_PVih,comdat
	.globl	_ZL11MPCcompressILi32EEviPlS0_PVih ; -- Begin function _ZL11MPCcompressILi32EEviPlS0_PVih
	.p2align	8
	.type	_ZL11MPCcompressILi32EEviPlS0_PVih,@function
_ZL11MPCcompressILi32EEviPlS0_PVih:     ; @_ZL11MPCcompressILi32EEviPlS0_PVih
; %bb.0:
	s_load_dword s33, s[4:5], 0x0
	s_movk_i32 s7, 0x3ff
	s_waitcnt lgkmcnt(0)
	s_add_i32 s0, s33, 0x3ff
	s_ashr_i32 s1, s0, 31
	s_lshr_b32 s1, s1, 22
	s_add_i32 s0, s0, s1
	s_ashr_i32 s42, s0, 10
	s_cmp_ge_i32 s6, s42
	s_cbranch_scc1 .LBB1_31
; %bb.1:
	v_mbcnt_lo_u32_b32 v4, -1, 0
	v_mbcnt_hi_u32_b32 v4, -1, v4
	s_add_i32 s1, s33, 63
	v_and_b32_e32 v5, 64, v4
	v_add_u32_e32 v8, -1, v4
	s_load_dwordx4 s[36:39], s[4:5], 0x8
	s_load_dwordx2 s[26:27], s[4:5], 0x18
	s_load_dword s0, s[4:5], 0x20
	s_load_dword s43, s[4:5], 0x28
	s_ashr_i32 s2, s1, 31
	v_cmp_lt_i32_e64 s[8:9], v8, v5
	s_lshr_b32 s2, s2, 26
	v_cndmask_b32_e64 v8, v8, v4, s[8:9]
	s_add_i32 s1, s1, s2
	v_lshlrev_b32_e32 v18, 2, v8
	v_add_u32_e32 v8, -2, v4
	s_ashr_i32 s44, s1, 6
	v_cmp_lt_i32_e64 s[10:11], v8, v5
	s_add_i32 s44, s44, 1
	s_add_i32 s45, s42, -1
	s_add_i32 s1, s6, 1
	v_cndmask_b32_e64 v8, v8, v4, s[10:11]
	s_waitcnt lgkmcnt(0)
	s_cmp_lg_u32 s1, s43
	v_lshlrev_b32_e32 v19, 2, v8
	v_add_u32_e32 v8, -4, v4
	s_cselect_b32 s28, s1, 0
	v_cmp_lt_i32_e64 s[12:13], v8, v5
	v_cmp_eq_u32_e64 s[24:25], s7, v0
	s_ashr_i32 s7, s6, 31
	s_and_b32 s40, s0, 0xff
	v_cndmask_b32_e64 v8, v8, v4, s[12:13]
	s_lshl_b64 s[30:31], s[6:7], 2
	v_lshlrev_b32_e32 v20, 2, v8
	v_add_u32_e32 v8, -8, v4
	s_add_u32 s30, s26, s30
	v_cmp_lt_i32_e64 s[14:15], v8, v5
	s_addc_u32 s31, s27, s31
	s_ashr_i32 s29, s28, 31
	v_cndmask_b32_e64 v8, v8, v4, s[14:15]
	s_lshl_b64 s[28:29], s[28:29], 2
	v_lshlrev_b32_e32 v21, 2, v8
	v_add_u32_e32 v8, -16, v4
	s_add_u32 s34, s26, s28
	v_cmp_lt_i32_e64 s[16:17], v8, v5
	s_addc_u32 s35, s27, s29
	v_subrev_u32_e32 v3, s40, v0
	v_cndmask_b32_e64 v4, v8, v4, s[16:17]
	s_add_u32 s7, s40, 0x43504cff
	v_lshlrev_b32_e32 v7, 3, v3
	v_and_b32_e32 v3, 31, v0
	v_lshlrev_b32_e32 v22, 2, v4
	v_lshrrev_b32_e32 v4, 3, v0
	s_addc_u32 s46, 0, 0
	v_and_b32_e32 v2, 0x3c0, v0
	v_and_b32_e32 v6, 63, v0
	v_lshlrev_b32_e32 v1, 3, v0
	v_cmp_eq_u32_e64 s[8:9], 0, v3
	v_cmp_lt_u32_e64 s[10:11], 1, v3
	v_cmp_lt_u32_e64 s[12:13], 3, v3
	;; [unrolled: 1-line block ×4, first 2 shown]
	v_cmp_eq_u32_e64 s[18:19], 31, v3
	v_and_b32_e32 v23, 0x7c, v4
	v_lshlrev_b32_e32 v24, 2, v3
	v_mov_b32_e32 v3, 0x2000
	s_add_u32 s47, s38, 8
	v_cmp_gt_u32_e32 vcc, s40, v0
	v_or_b32_e32 v16, 0x2000, v1
	v_mov_b32_e32 v9, 0
	v_cmp_ne_u32_e64 s[0:1], 0, v0
	v_add_u32_e32 v17, -8, v1
	v_cmp_eq_u32_e64 s[2:3], 32, v6
	v_cmp_ne_u32_e64 s[4:5], 0, v6
	v_cmp_gt_u32_e64 s[20:21], 32, v0
	v_cmp_lt_u32_e64 s[22:23], 31, v0
	v_add_u32_e32 v25, -4, v23
	v_or_b32_e32 v26, 0x21f8, v1
	v_lshl_or_b32 v27, v2, 3, v3
	s_addc_u32 s48, s39, 0
	v_mov_b32_e32 v28, -1
	s_branch .LBB1_3
.LBB1_2:                                ;   in Loop: Header=BB1_3 Depth=1
	s_or_b64 exec, exec, s[28:29]
	s_add_i32 s6, s6, s43
	s_cmp_ge_i32 s6, s42
	s_cbranch_scc1 .LBB1_31
.LBB1_3:                                ; =>This Loop Header: Depth=1
                                        ;     Child Loop BB1_24 Depth 2
	v_lshl_or_b32 v10, s6, 10, v0
	v_cmp_le_i32_e64 s[26:27], s33, v10
	v_cmp_gt_i32_e64 s[28:29], s33, v10
	v_pk_mov_b32 v[2:3], 0, 0
	s_and_saveexec_b64 s[40:41], s[28:29]
	s_cbranch_execz .LBB1_5
; %bb.4:                                ;   in Loop: Header=BB1_3 Depth=1
	v_ashrrev_i32_e32 v11, 31, v10
	v_lshlrev_b64 v[2:3], 3, v[10:11]
	v_mov_b32_e32 v4, s37
	v_add_co_u32_e64 v2, s[28:29], s36, v2
	v_addc_co_u32_e64 v3, s[28:29], v4, v3, s[28:29]
	global_load_dwordx2 v[2:3], v[2:3], off
	s_waitcnt vmcnt(0)
	ds_write_b64 v1, v[2:3]
.LBB1_5:                                ;   in Loop: Header=BB1_3 Depth=1
	s_or_b64 exec, exec, s[40:41]
	s_or_b64 s[28:29], vcc, s[26:27]
	s_xor_b64 s[28:29], s[28:29], -1
	s_waitcnt lgkmcnt(0)
	s_barrier
	s_and_saveexec_b64 s[40:41], s[28:29]
	s_cbranch_execz .LBB1_7
; %bb.6:                                ;   in Loop: Header=BB1_3 Depth=1
	ds_read_b64 v[4:5], v7
	s_waitcnt lgkmcnt(0)
	v_sub_co_u32_e64 v2, s[28:29], v2, v4
	v_subb_co_u32_e64 v3, s[28:29], v3, v5, s[28:29]
.LBB1_7:                                ;   in Loop: Header=BB1_3 Depth=1
	s_or_b64 exec, exec, s[40:41]
	ds_write_b64 v16, v[2:3]
	s_waitcnt lgkmcnt(0)
	s_barrier
	ds_read_b64 v[12:13], v26
	ds_read_b64 v[14:15], v27 offset:496
	ds_read_b128 v[2:5], v27
	ds_read_b128 v[30:33], v27 offset:480
	s_waitcnt lgkmcnt(3)
	v_lshrrev_b64 v[12:13], v6, v[12:13]
	v_lshlrev_b32_e32 v8, 1, v12
	v_and_b32_e32 v8, 2, v8
	s_waitcnt lgkmcnt(2)
	v_lshrrev_b64 v[12:13], v6, v[14:15]
	v_and_or_b32 v8, v12, 1, v8
	ds_read_b128 v[12:15], v27 offset:464
	s_waitcnt lgkmcnt(1)
	v_lshrrev_b64 v[32:33], v6, v[32:33]
	v_lshlrev_b32_e32 v11, 1, v32
	v_and_b32_e32 v11, 2, v11
	v_lshl_or_b32 v8, v8, 2, v11
	v_lshrrev_b64 v[30:31], v6, v[30:31]
	s_waitcnt lgkmcnt(0)
	v_lshrrev_b64 v[14:15], v6, v[14:15]
	v_and_or_b32 v8, v30, 1, v8
	v_lshlrev_b32_e32 v11, 1, v14
	ds_read_b128 v[30:33], v27 offset:448
	v_and_b32_e32 v11, 2, v11
	v_lshl_or_b32 v8, v8, 2, v11
	v_lshrrev_b64 v[12:13], v6, v[12:13]
	v_and_or_b32 v8, v12, 1, v8
	ds_read_b128 v[12:15], v27 offset:432
	s_waitcnt lgkmcnt(1)
	v_lshrrev_b64 v[32:33], v6, v[32:33]
	v_lshrrev_b64 v[30:31], v6, v[30:31]
	v_lshlrev_b64 v[34:35], 2, v[8:9]
	v_lshlrev_b32_e32 v8, 1, v32
	v_and_b32_e32 v11, 1, v30
	ds_read_b128 v[30:33], v27 offset:416
	v_and_or_b32 v8, v8, 2, v34
	v_or_b32_e32 v34, v11, v8
	s_waitcnt lgkmcnt(1)
	v_lshrrev_b64 v[14:15], v6, v[14:15]
	v_lshrrev_b64 v[12:13], v6, v[12:13]
	v_lshlrev_b64 v[34:35], 2, v[34:35]
	v_lshlrev_b32_e32 v8, 1, v14
	v_and_b32_e32 v11, 1, v12
	ds_read_b128 v[12:15], v27 offset:400
	v_and_or_b32 v8, v8, 2, v34
	v_or_b32_e32 v34, v11, v8
	;; [unrolled: 9-line block ×24, first 2 shown]
	s_waitcnt lgkmcnt(1)
	v_lshrrev_b64 v[32:33], v6, v[32:33]
	v_lshrrev_b64 v[30:31], v6, v[30:31]
	v_lshlrev_b64 v[38:39], 2, v[34:35]
	v_lshlrev_b32_e32 v8, 1, v32
	v_and_b32_e32 v11, 1, v30
	ds_read_b128 v[30:33], v27 offset:16
	ds_read_b128 v[34:37], v27 offset:32
	v_and_or_b32 v8, v8, 2, v38
	v_or_b32_e32 v38, v11, v8
	s_waitcnt lgkmcnt(2)
	v_lshrrev_b64 v[14:15], v6, v[14:15]
	v_lshlrev_b64 v[38:39], 2, v[38:39]
	v_lshlrev_b32_e32 v8, 1, v14
	v_lshrrev_b64 v[12:13], v6, v[12:13]
	v_and_or_b32 v8, v8, 2, v38
	v_and_b32_e32 v11, 1, v12
	v_or_b32_e32 v38, v11, v8
	s_waitcnt lgkmcnt(0)
	v_lshrrev_b64 v[12:13], v6, v[36:37]
	v_lshlrev_b64 v[14:15], 2, v[38:39]
	v_lshlrev_b32_e32 v8, 1, v12
	v_lshrrev_b64 v[12:13], v6, v[34:35]
	v_and_or_b32 v8, v8, 2, v14
	v_and_b32_e32 v11, 1, v12
	v_or_b32_e32 v14, v11, v8
	v_lshrrev_b64 v[12:13], v6, v[32:33]
	v_lshlrev_b64 v[14:15], 2, v[14:15]
	v_lshlrev_b32_e32 v8, 1, v12
	v_lshrrev_b64 v[12:13], v6, v[30:31]
	v_and_or_b32 v8, v8, 2, v14
	v_and_b32_e32 v11, 1, v12
	v_or_b32_e32 v14, v11, v8
	;; [unrolled: 7-line block ×3, first 2 shown]
	ds_write_b64 v1, v[4:5]
	s_waitcnt lgkmcnt(0)
	s_barrier
	s_and_saveexec_b64 s[40:41], s[0:1]
	s_cbranch_execz .LBB1_9
; %bb.8:                                ;   in Loop: Header=BB1_3 Depth=1
	ds_read_b64 v[2:3], v17
	s_waitcnt lgkmcnt(0)
	v_sub_co_u32_e64 v4, s[28:29], v4, v2
	v_subb_co_u32_e64 v5, s[28:29], v5, v3, s[28:29]
.LBB1_9:                                ;   in Loop: Header=BB1_3 Depth=1
	s_or_b64 exec, exec, s[40:41]
	v_cmp_ne_u64_e64 s[28:29], 0, v[4:5]
	s_and_saveexec_b64 s[40:41], s[2:3]
	s_cbranch_execz .LBB1_11
; %bb.10:                               ;   in Loop: Header=BB1_3 Depth=1
	v_pk_mov_b32 v[2:3], s[28:29], s[28:29] op_sel:[0,1]
	ds_write_b64 v16, v[2:3]
.LBB1_11:                               ;   in Loop: Header=BB1_3 Depth=1
	s_or_b64 exec, exec, s[40:41]
	s_or_b64 s[26:27], s[4:5], s[26:27]
	s_xor_b64 s[26:27], s[26:27], -1
	s_waitcnt lgkmcnt(0)
	s_barrier
	s_and_saveexec_b64 s[40:41], s[26:27]
	s_cbranch_execz .LBB1_13
; %bb.12:                               ;   in Loop: Header=BB1_3 Depth=1
	v_ashrrev_i32_e32 v2, 6, v10
	v_ashrrev_i32_e32 v3, 31, v2
	v_lshlrev_b64 v[2:3], 3, v[2:3]
	v_mov_b32_e32 v8, s48
	v_add_co_u32_e64 v2, s[26:27], s47, v2
	v_addc_co_u32_e64 v3, s[26:27], v8, v3, s[26:27]
	ds_read_b32 v8, v16 offset:256
	v_mov_b32_e32 v11, s29
	v_add_co_u32_e64 v10, s[26:27], 0, s28
	s_waitcnt lgkmcnt(0)
	v_addc_co_u32_e64 v11, s[26:27], v8, v11, s[26:27]
	global_store_dwordx2 v[2:3], v[10:11], off
.LBB1_13:                               ;   in Loop: Header=BB1_3 Depth=1
	s_or_b64 exec, exec, s[40:41]
	v_cndmask_b32_e64 v2, 0, 1, s[28:29]
	ds_bpermute_b32 v3, v18, v2
	s_waitcnt lgkmcnt(0)
	v_cndmask_b32_e64 v3, v3, 0, s[8:9]
	v_add_u32_e32 v3, v3, v2
	ds_bpermute_b32 v8, v19, v3
	s_waitcnt lgkmcnt(0)
	v_cndmask_b32_e64 v8, 0, v8, s[10:11]
	v_add_u32_e32 v3, v3, v8
	;; [unrolled: 4-line block ×5, first 2 shown]
	s_and_saveexec_b64 s[26:27], s[18:19]
	s_cbranch_execz .LBB1_15
; %bb.14:                               ;   in Loop: Header=BB1_3 Depth=1
	ds_write_b32 v23, v3
.LBB1_15:                               ;   in Loop: Header=BB1_3 Depth=1
	s_or_b64 exec, exec, s[26:27]
	s_waitcnt lgkmcnt(0)
	s_barrier
	s_and_saveexec_b64 s[26:27], s[20:21]
	s_cbranch_execz .LBB1_17
; %bb.16:                               ;   in Loop: Header=BB1_3 Depth=1
	ds_read_b32 v8, v24
	s_waitcnt lgkmcnt(0)
	ds_bpermute_b32 v10, v18, v8
	s_waitcnt lgkmcnt(0)
	v_cndmask_b32_e64 v10, v10, 0, s[8:9]
	v_add_u32_e32 v8, v10, v8
	ds_bpermute_b32 v10, v19, v8
	s_waitcnt lgkmcnt(0)
	v_cndmask_b32_e64 v10, 0, v10, s[10:11]
	v_add_u32_e32 v8, v10, v8
	;; [unrolled: 4-line block ×5, first 2 shown]
	ds_write_b32 v24, v8
.LBB1_17:                               ;   in Loop: Header=BB1_3 Depth=1
	s_or_b64 exec, exec, s[26:27]
	v_cndmask_b32_e64 v2, v3, v2, s[8:9]
	s_waitcnt lgkmcnt(0)
	s_barrier
	s_and_saveexec_b64 s[26:27], s[22:23]
	s_cbranch_execnz .LBB1_20
; %bb.18:                               ;   in Loop: Header=BB1_3 Depth=1
	s_or_b64 exec, exec, s[26:27]
	s_and_saveexec_b64 s[26:27], s[28:29]
	s_cbranch_execnz .LBB1_21
.LBB1_19:                               ;   in Loop: Header=BB1_3 Depth=1
	s_or_b64 exec, exec, s[26:27]
	s_and_saveexec_b64 s[28:29], s[24:25]
	s_cbranch_execnz .LBB1_22
	s_branch .LBB1_29
.LBB1_20:                               ;   in Loop: Header=BB1_3 Depth=1
	ds_read_b32 v3, v25
	s_waitcnt lgkmcnt(0)
	v_add_u32_e32 v2, v3, v2
	s_or_b64 exec, exec, s[26:27]
	s_and_saveexec_b64 s[26:27], s[28:29]
	s_cbranch_execz .LBB1_19
.LBB1_21:                               ;   in Loop: Header=BB1_3 Depth=1
	v_lshlrev_b32_e32 v3, 3, v2
	ds_write_b64 v3, v[4:5] offset:8184
	s_or_b64 exec, exec, s[26:27]
	s_and_saveexec_b64 s[28:29], s[24:25]
	s_cbranch_execz .LBB1_29
.LBB1_22:                               ;   in Loop: Header=BB1_3 Depth=1
	s_cmp_lt_i32 s6, 1
	v_mov_b32_e32 v3, s44
	s_cbranch_scc1 .LBB1_26
; %bb.23:                               ;   in Loop: Header=BB1_3 Depth=1
	s_mov_b64 s[40:41], 0
.LBB1_24:                               ;   Parent Loop BB1_3 Depth=1
                                        ; =>  This Inner Loop Header: Depth=2
	v_pk_mov_b32 v[4:5], s[30:31], s[30:31] op_sel:[0,1]
	flat_load_dword v3, v[4:5] glc
	s_waitcnt vmcnt(0) lgkmcnt(0)
	v_cmp_lt_i32_e64 s[26:27], -1, v3
	s_or_b64 s[40:41], s[26:27], s[40:41]
	s_andn2_b64 exec, exec, s[40:41]
	s_cbranch_execnz .LBB1_24
; %bb.25:                               ;   in Loop: Header=BB1_3 Depth=1
	s_or_b64 exec, exec, s[40:41]
.LBB1_26:                               ;   in Loop: Header=BB1_3 Depth=1
	v_add_u32_e32 v4, v3, v2
	v_pk_mov_b32 v[10:11], s[34:35], s[34:35] op_sel:[0,1]
	flat_store_dword v[10:11], v4
	s_waitcnt vmcnt(0)
	v_pk_mov_b32 v[10:11], s[30:31], s[30:31] op_sel:[0,1]
	s_cmp_lg_u32 s6, s45
	flat_store_dword v[10:11], v28
	s_waitcnt vmcnt(0)
	s_cbranch_scc1 .LBB1_28
; %bb.27:                               ;   in Loop: Header=BB1_3 Depth=1
	v_or_b32_e32 v5, s46, v4
	v_mov_b32_e32 v4, s7
	global_store_dwordx2 v9, v[4:5], s[38:39]
.LBB1_28:                               ;   in Loop: Header=BB1_3 Depth=1
	ds_write_b64 v9, v[2:3] offset:16384
.LBB1_29:                               ;   in Loop: Header=BB1_3 Depth=1
	s_or_b64 exec, exec, s[28:29]
	s_waitcnt lgkmcnt(0)
	s_barrier
	ds_read_b32 v2, v9 offset:16384
	s_waitcnt lgkmcnt(0)
	v_cmp_lt_i32_e64 s[26:27], v0, v2
	s_and_saveexec_b64 s[28:29], s[26:27]
	s_cbranch_execz .LBB1_2
; %bb.30:                               ;   in Loop: Header=BB1_3 Depth=1
	ds_read_b32 v4, v9 offset:16388
	ds_read_b64 v[2:3], v16
	v_mov_b32_e32 v8, s39
	s_waitcnt lgkmcnt(1)
	v_add_u32_e32 v4, v4, v0
	v_ashrrev_i32_e32 v5, 31, v4
	v_lshlrev_b64 v[4:5], 3, v[4:5]
	v_add_co_u32_e64 v4, s[26:27], s38, v4
	v_addc_co_u32_e64 v5, s[26:27], v8, v5, s[26:27]
	s_waitcnt lgkmcnt(0)
	global_store_dwordx2 v[4:5], v[2:3], off
	s_branch .LBB1_2
.LBB1_31:
	s_endpgm
	.section	.rodata,"a",@progbits
	.p2align	6, 0x0
	.amdhsa_kernel _ZL11MPCcompressILi32EEviPlS0_PVih
		.amdhsa_group_segment_fixed_size 16392
		.amdhsa_private_segment_fixed_size 0
		.amdhsa_kernarg_size 296
		.amdhsa_user_sgpr_count 6
		.amdhsa_user_sgpr_private_segment_buffer 1
		.amdhsa_user_sgpr_dispatch_ptr 0
		.amdhsa_user_sgpr_queue_ptr 0
		.amdhsa_user_sgpr_kernarg_segment_ptr 1
		.amdhsa_user_sgpr_dispatch_id 0
		.amdhsa_user_sgpr_flat_scratch_init 0
		.amdhsa_user_sgpr_kernarg_preload_length 0
		.amdhsa_user_sgpr_kernarg_preload_offset 0
		.amdhsa_user_sgpr_private_segment_size 0
		.amdhsa_uses_dynamic_stack 0
		.amdhsa_system_sgpr_private_segment_wavefront_offset 0
		.amdhsa_system_sgpr_workgroup_id_x 1
		.amdhsa_system_sgpr_workgroup_id_y 0
		.amdhsa_system_sgpr_workgroup_id_z 0
		.amdhsa_system_sgpr_workgroup_info 0
		.amdhsa_system_vgpr_workitem_id 0
		.amdhsa_next_free_vgpr 40
		.amdhsa_next_free_sgpr 49
		.amdhsa_accum_offset 40
		.amdhsa_reserve_vcc 1
		.amdhsa_reserve_flat_scratch 0
		.amdhsa_float_round_mode_32 0
		.amdhsa_float_round_mode_16_64 0
		.amdhsa_float_denorm_mode_32 3
		.amdhsa_float_denorm_mode_16_64 3
		.amdhsa_dx10_clamp 1
		.amdhsa_ieee_mode 1
		.amdhsa_fp16_overflow 0
		.amdhsa_tg_split 0
		.amdhsa_exception_fp_ieee_invalid_op 0
		.amdhsa_exception_fp_denorm_src 0
		.amdhsa_exception_fp_ieee_div_zero 0
		.amdhsa_exception_fp_ieee_overflow 0
		.amdhsa_exception_fp_ieee_underflow 0
		.amdhsa_exception_fp_ieee_inexact 0
		.amdhsa_exception_int_div_zero 0
	.end_amdhsa_kernel
	.section	.text._ZL11MPCcompressILi32EEviPlS0_PVih,"axG",@progbits,_ZL11MPCcompressILi32EEviPlS0_PVih,comdat
.Lfunc_end1:
	.size	_ZL11MPCcompressILi32EEviPlS0_PVih, .Lfunc_end1-_ZL11MPCcompressILi32EEviPlS0_PVih
                                        ; -- End function
	.section	.AMDGPU.csdata,"",@progbits
; Kernel info:
; codeLenInByte = 3340
; NumSgprs: 53
; NumVgprs: 40
; NumAgprs: 0
; TotalNumVgprs: 40
; ScratchSize: 0
; MemoryBound: 0
; FloatMode: 240
; IeeeMode: 1
; LDSByteSize: 16392 bytes/workgroup (compile time only)
; SGPRBlocks: 6
; VGPRBlocks: 4
; NumSGPRsForWavesPerEU: 53
; NumVGPRsForWavesPerEU: 40
; AccumOffset: 40
; Occupancy: 8
; WaveLimiterHint : 0
; COMPUTE_PGM_RSRC2:SCRATCH_EN: 0
; COMPUTE_PGM_RSRC2:USER_SGPR: 6
; COMPUTE_PGM_RSRC2:TRAP_HANDLER: 0
; COMPUTE_PGM_RSRC2:TGID_X_EN: 1
; COMPUTE_PGM_RSRC2:TGID_Y_EN: 0
; COMPUTE_PGM_RSRC2:TGID_Z_EN: 0
; COMPUTE_PGM_RSRC2:TIDIG_COMP_CNT: 0
; COMPUTE_PGM_RSRC3_GFX90A:ACCUM_OFFSET: 9
; COMPUTE_PGM_RSRC3_GFX90A:TG_SPLIT: 0
	.section	.text._ZL13MPCdecompressILi64EEvPlS0_PVi,"axG",@progbits,_ZL13MPCdecompressILi64EEvPlS0_PVi,comdat
	.globl	_ZL13MPCdecompressILi64EEvPlS0_PVi ; -- Begin function _ZL13MPCdecompressILi64EEvPlS0_PVi
	.p2align	8
	.type	_ZL13MPCdecompressILi64EEvPlS0_PVi,@function
_ZL13MPCdecompressILi64EEvPlS0_PVi:     ; @_ZL13MPCdecompressILi64EEvPlS0_PVi
; %bb.0:
	s_load_dwordx2 s[44:45], s[4:5], 0x0
	s_movk_i32 s7, 0x3ff
	s_waitcnt lgkmcnt(0)
	s_load_dwordx2 s[46:47], s[44:45], 0x0
	s_waitcnt lgkmcnt(0)
	s_add_i32 s0, s47, 0x3ff
	s_ashr_i32 s1, s0, 31
	s_lshr_b32 s1, s1, 22
	s_add_i32 s0, s0, s1
	s_ashr_i32 s33, s0, 10
	s_cmp_ge_i32 s6, s33
	s_cbranch_scc1 .LBB2_47
; %bb.1:
	v_mbcnt_lo_u32_b32 v1, -1, 0
	v_mbcnt_hi_u32_b32 v1, -1, v1
	v_and_b32_e32 v7, 64, v1
	v_add_u32_e32 v3, -1, v1
	v_cmp_lt_i32_e32 vcc, v3, v7
	v_cndmask_b32_e32 v3, v3, v1, vcc
	v_lshlrev_b32_e32 v16, 2, v3
	v_add_u32_e32 v3, -2, v1
	v_cmp_lt_i32_e64 s[2:3], v3, v7
	v_cndmask_b32_e64 v3, v3, v1, s[2:3]
	v_lshlrev_b32_e32 v17, 2, v3
	v_add_u32_e32 v3, -4, v1
	s_load_dwordx4 s[40:43], s[4:5], 0x8
	s_load_dword s54, s[4:5], 0x18
	v_cmp_lt_i32_e64 s[4:5], v3, v7
	v_cndmask_b32_e64 v3, v3, v1, s[4:5]
	s_add_i32 s0, s47, 63
	v_lshlrev_b32_e32 v18, 2, v3
	v_add_u32_e32 v3, -8, v1
	s_ashr_i32 s1, s0, 31
	v_cmp_lt_i32_e64 s[8:9], v3, v7
	s_lshr_b32 s1, s1, 26
	v_cndmask_b32_e64 v3, v3, v1, s[8:9]
	s_add_i32 s0, s0, s1
	v_lshlrev_b32_e32 v19, 2, v3
	v_add_u32_e32 v3, -16, v1
	s_ashr_i32 s55, s0, 6
	s_add_i32 s0, s47, -1
	v_cmp_lt_i32_e64 s[10:11], v3, v7
	s_add_i32 s55, s55, 1
	s_or_b32 s56, s0, 63
	s_add_i32 s0, s6, 1
	v_cndmask_b32_e64 v3, v3, v1, s[10:11]
	s_waitcnt lgkmcnt(0)
	s_cmp_lg_u32 s0, s54
	v_lshlrev_b32_e32 v20, 2, v3
	v_subrev_u32_e32 v3, 32, v1
	s_cselect_b32 s22, s0, 0
	s_and_b32 s46, s46, 31
	v_cmp_lt_i32_e64 s[12:13], v3, v7
	v_and_b32_e32 v6, 63, v0
	s_add_i32 s46, s46, 1
	v_cndmask_b32_e64 v3, v3, v1, s[12:13]
	v_lshlrev_b32_e32 v21, 2, v3
	v_lshrrev_b32_e32 v3, 6, v0
	v_add_u32_e32 v8, s46, v6
	v_lshlrev_b32_e32 v5, 3, v3
	v_cmp_lt_u32_e64 s[34:35], 63, v8
	v_mul_u32_u24_e32 v8, s46, v6
	v_lshl_add_u32 v27, v8, 3, v5
	v_cvt_f32_ubyte0_e32 v8, s46
	v_add_u32_e32 v26, -8, v5
	v_cvt_f32_u32_e32 v5, v0
	v_rcp_iflag_f32_e32 v10, v8
	v_lshlrev_b32_e32 v4, 3, v0
	v_and_b32_e32 v2, 0x3c0, v0
	v_or_b32_e32 v25, 0x2000, v4
	v_or_b32_e32 v28, 0x21f8, v4
	v_mov_b32_e32 v4, 0x2000
	v_lshl_or_b32 v29, v2, 3, v4
	v_mul_f32_e32 v2, v5, v10
	v_trunc_f32_e32 v2, v2
	v_cvt_u32_f32_e32 v4, v2
	v_cmp_eq_u32_e64 s[20:21], s7, v0
	s_ashr_i32 s7, s6, 31
	v_mad_f32 v2, -v2, v8, v5
	s_lshl_b64 s[24:25], s[6:7], 2
	v_cmp_ge_f32_e64 s[38:39], |v2|, v8
	s_add_u32 s48, s42, s24
	v_addc_co_u32_e64 v2, s[38:39], 0, v4, s[38:39]
	s_addc_u32 s49, s43, s25
	s_ashr_i32 s23, s22, 31
	v_mul_lo_u32 v2, v2, s46
	s_lshl_b64 s[22:23], s[22:23], 2
	v_sub_u32_e32 v2, v0, v2
	s_add_u32 s42, s42, s22
	v_and_b32_e32 v2, 0x3ff, v2
	s_addc_u32 s43, s43, s23
	v_mad_u32_u24 v2, v3, s46, v2
	v_lshlrev_b32_e32 v22, 2, v3
	v_lshlrev_b32_e32 v23, 2, v6
	s_add_u32 s7, s44, 8
	v_lshlrev_b32_e32 v30, 3, v2
	v_subrev_u32_e32 v2, s46, v2
	v_mov_b32_e32 v9, 0
	v_cmp_eq_u32_e32 vcc, 0, v6
	v_cmp_ne_u32_e64 s[0:1], 0, v6
	v_cmp_lt_u32_e64 s[2:3], 1, v6
	v_cmp_lt_u32_e64 s[4:5], 3, v6
	v_cmp_lt_u32_e64 s[8:9], 7, v6
	v_cmp_lt_u32_e64 s[10:11], 15, v6
	v_cmp_lt_u32_e64 s[12:13], 31, v6
	v_cmp_eq_u32_e64 s[14:15], 63, v6
	v_cmp_gt_u32_e64 s[16:17], 64, v0
	v_cmp_lt_u32_e64 s[18:19], 63, v0
	v_add_u32_e32 v24, -4, v22
	v_cmp_gt_u32_e64 s[22:23], 2, v6
	v_cmp_gt_u32_e64 s[24:25], 4, v6
	;; [unrolled: 1-line block ×6, first 2 shown]
	s_addc_u32 s57, s45, 0
	v_lshlrev_b32_e32 v31, 3, v2
	v_mov_b32_e32 v32, -1
	v_add_u32_e32 v33, v22, v22
	v_add_u32_e32 v34, v23, v23
	s_branch .LBB2_3
.LBB2_2:                                ;   in Loop: Header=BB2_3 Depth=1
	s_or_b64 exec, exec, s[50:51]
	s_add_i32 s6, s6, s54
	s_cmp_ge_i32 s6, s33
	s_cbranch_scc1 .LBB2_47
.LBB2_3:                                ; =>This Loop Header: Depth=1
                                        ;     Child Loop BB2_14 Depth 2
                                        ;     Child Loop BB2_38 Depth 2
	v_lshl_or_b32 v10, s6, 10, v0
	v_cmp_ge_i32_e64 s[38:39], s56, v10
	v_ashrrev_i32_e32 v11, 31, v10
	v_mov_b32_e32 v2, 0
	s_and_saveexec_b64 s[50:51], s[38:39]
	s_cbranch_execz .LBB2_5
; %bb.4:                                ;   in Loop: Header=BB2_3 Depth=1
	v_lshrrev_b32_e32 v2, 26, v11
	v_add_u32_e32 v2, v10, v2
	v_ashrrev_i32_e32 v2, 6, v2
	v_ashrrev_i32_e32 v3, 31, v2
	v_lshlrev_b64 v[2:3], 3, v[2:3]
	v_mov_b32_e32 v4, s57
	v_add_co_u32_e64 v2, s[38:39], s7, v2
	v_addc_co_u32_e64 v3, s[38:39], v4, v3, s[38:39]
	global_load_dwordx2 v[2:3], v[2:3], off
	s_waitcnt vmcnt(0)
	v_lshrrev_b64 v[2:3], v6, v[2:3]
	v_and_b32_e32 v2, 1, v2
.LBB2_5:                                ;   in Loop: Header=BB2_3 Depth=1
	s_or_b64 exec, exec, s[50:51]
	ds_bpermute_b32 v3, v16, v2
	s_waitcnt lgkmcnt(0)
	s_barrier
	v_cndmask_b32_e64 v3, v3, 0, vcc
	v_add_u32_e32 v3, v3, v2
	ds_bpermute_b32 v4, v17, v3
	s_waitcnt lgkmcnt(0)
	v_cndmask_b32_e64 v4, 0, v4, s[2:3]
	v_add_u32_e32 v3, v3, v4
	ds_bpermute_b32 v4, v18, v3
	s_waitcnt lgkmcnt(0)
	v_cndmask_b32_e64 v4, 0, v4, s[4:5]
	;; [unrolled: 4-line block ×5, first 2 shown]
	v_add_u32_e32 v3, v3, v4
	s_and_saveexec_b64 s[38:39], s[14:15]
	s_cbranch_execz .LBB2_7
; %bb.6:                                ;   in Loop: Header=BB2_3 Depth=1
	ds_write_b32 v22, v3
.LBB2_7:                                ;   in Loop: Header=BB2_3 Depth=1
	s_or_b64 exec, exec, s[38:39]
	s_waitcnt lgkmcnt(0)
	s_barrier
	s_and_saveexec_b64 s[38:39], s[16:17]
	s_cbranch_execz .LBB2_9
; %bb.8:                                ;   in Loop: Header=BB2_3 Depth=1
	ds_read_b32 v4, v23
	s_waitcnt lgkmcnt(0)
	ds_bpermute_b32 v5, v16, v4
	s_waitcnt lgkmcnt(0)
	v_cndmask_b32_e64 v5, v5, 0, vcc
	v_add_u32_e32 v4, v5, v4
	ds_bpermute_b32 v5, v17, v4
	s_waitcnt lgkmcnt(0)
	v_cndmask_b32_e64 v5, 0, v5, s[2:3]
	v_add_u32_e32 v4, v5, v4
	ds_bpermute_b32 v5, v18, v4
	s_waitcnt lgkmcnt(0)
	v_cndmask_b32_e64 v5, 0, v5, s[4:5]
	;; [unrolled: 4-line block ×5, first 2 shown]
	v_add_u32_e32 v4, v5, v4
	ds_write_b32 v23, v4
.LBB2_9:                                ;   in Loop: Header=BB2_3 Depth=1
	s_or_b64 exec, exec, s[38:39]
	v_cndmask_b32_e32 v4, v3, v2, vcc
	s_waitcnt lgkmcnt(0)
	s_barrier
	s_and_saveexec_b64 s[38:39], s[18:19]
	s_cbranch_execz .LBB2_11
; %bb.10:                               ;   in Loop: Header=BB2_3 Depth=1
	ds_read_b32 v3, v24
	s_waitcnt lgkmcnt(0)
	v_add_u32_e32 v4, v3, v4
.LBB2_11:                               ;   in Loop: Header=BB2_3 Depth=1
	s_or_b64 exec, exec, s[38:39]
	s_and_saveexec_b64 s[50:51], s[20:21]
	s_cbranch_execz .LBB2_17
; %bb.12:                               ;   in Loop: Header=BB2_3 Depth=1
	s_cmp_lt_i32 s6, 1
	v_mov_b32_e32 v5, s55
	s_cbranch_scc1 .LBB2_16
; %bb.13:                               ;   in Loop: Header=BB2_3 Depth=1
	s_mov_b64 s[52:53], 0
.LBB2_14:                               ;   Parent Loop BB2_3 Depth=1
                                        ; =>  This Inner Loop Header: Depth=2
	v_pk_mov_b32 v[12:13], s[48:49], s[48:49] op_sel:[0,1]
	flat_load_dword v5, v[12:13] glc
	s_waitcnt vmcnt(0) lgkmcnt(0)
	v_cmp_lt_i32_e64 s[38:39], -1, v5
	s_or_b64 s[52:53], s[38:39], s[52:53]
	s_andn2_b64 exec, exec, s[52:53]
	s_cbranch_execnz .LBB2_14
; %bb.15:                               ;   in Loop: Header=BB2_3 Depth=1
	s_or_b64 exec, exec, s[52:53]
.LBB2_16:                               ;   in Loop: Header=BB2_3 Depth=1
	v_add_u32_e32 v3, v5, v4
	v_pk_mov_b32 v[12:13], s[42:43], s[42:43] op_sel:[0,1]
	flat_store_dword v[12:13], v3
	s_waitcnt vmcnt(0)
	v_pk_mov_b32 v[12:13], s[48:49], s[48:49] op_sel:[0,1]
	flat_store_dword v[12:13], v32
	s_waitcnt vmcnt(0)
	ds_write_b64 v9, v[4:5] offset:16384
.LBB2_17:                               ;   in Loop: Header=BB2_3 Depth=1
	s_or_b64 exec, exec, s[50:51]
	s_waitcnt lgkmcnt(0)
	s_barrier
	ds_read_b32 v3, v9 offset:16384
	s_waitcnt lgkmcnt(0)
	v_cmp_lt_i32_e64 s[38:39], v0, v3
	s_and_saveexec_b64 s[50:51], s[38:39]
	s_cbranch_execz .LBB2_19
; %bb.18:                               ;   in Loop: Header=BB2_3 Depth=1
	ds_read_b32 v3, v9 offset:16388
	v_mov_b32_e32 v5, s45
	s_waitcnt lgkmcnt(0)
	v_add_u32_e32 v12, v3, v0
	v_ashrrev_i32_e32 v13, 31, v12
	v_lshlrev_b64 v[12:13], 3, v[12:13]
	v_add_co_u32_e64 v12, s[38:39], s44, v12
	v_addc_co_u32_e64 v13, s[38:39], v5, v13, s[38:39]
	global_load_dwordx2 v[12:13], v[12:13], off
	s_waitcnt vmcnt(0)
	ds_write_b64 v25, v[12:13]
.LBB2_19:                               ;   in Loop: Header=BB2_3 Depth=1
	s_or_b64 exec, exec, s[50:51]
	v_cmp_ne_u32_e64 s[38:39], 0, v2
	v_pk_mov_b32 v[2:3], 0, 0
	s_waitcnt lgkmcnt(0)
	s_barrier
	s_and_saveexec_b64 s[50:51], s[38:39]
	s_cbranch_execz .LBB2_21
; %bb.20:                               ;   in Loop: Header=BB2_3 Depth=1
	v_lshlrev_b32_e32 v2, 3, v4
	ds_read_b64 v[2:3], v2 offset:8184
.LBB2_21:                               ;   in Loop: Header=BB2_3 Depth=1
	s_or_b64 exec, exec, s[50:51]
	s_waitcnt lgkmcnt(0)
	ds_bpermute_b32 v8, v16, v2
	ds_bpermute_b32 v5, v16, v3
	v_mov_b32_e32 v4, v2
	s_and_saveexec_b64 s[50:51], s[0:1]
	s_cbranch_execz .LBB2_23
; %bb.22:                               ;   in Loop: Header=BB2_3 Depth=1
	s_waitcnt lgkmcnt(1)
	v_add_co_u32_e64 v4, s[38:39], v2, v8
	v_addc_co_u32_e64 v3, s[38:39], 0, v3, s[38:39]
	v_add_co_u32_e64 v2, s[38:39], 0, v4
	s_waitcnt lgkmcnt(0)
	v_addc_co_u32_e64 v3, s[38:39], v5, v3, s[38:39]
.LBB2_23:                               ;   in Loop: Header=BB2_3 Depth=1
	s_or_b64 exec, exec, s[50:51]
	s_waitcnt lgkmcnt(1)
	ds_bpermute_b32 v8, v17, v4
	s_waitcnt lgkmcnt(1)
	ds_bpermute_b32 v5, v17, v3
	s_and_saveexec_b64 s[50:51], s[2:3]
	s_cbranch_execz .LBB2_25
; %bb.24:                               ;   in Loop: Header=BB2_3 Depth=1
	s_waitcnt lgkmcnt(1)
	v_add_co_u32_e64 v4, s[38:39], v2, v8
	v_addc_co_u32_e64 v3, s[38:39], 0, v3, s[38:39]
	v_add_co_u32_e64 v2, s[38:39], 0, v4
	s_waitcnt lgkmcnt(0)
	v_addc_co_u32_e64 v3, s[38:39], v5, v3, s[38:39]
.LBB2_25:                               ;   in Loop: Header=BB2_3 Depth=1
	s_or_b64 exec, exec, s[50:51]
	s_waitcnt lgkmcnt(1)
	ds_bpermute_b32 v8, v18, v4
	s_waitcnt lgkmcnt(1)
	ds_bpermute_b32 v5, v18, v3
	s_and_saveexec_b64 s[50:51], s[4:5]
	s_cbranch_execz .LBB2_27
; %bb.26:                               ;   in Loop: Header=BB2_3 Depth=1
	s_waitcnt lgkmcnt(1)
	v_add_co_u32_e64 v4, s[38:39], v2, v8
	v_addc_co_u32_e64 v3, s[38:39], 0, v3, s[38:39]
	v_add_co_u32_e64 v2, s[38:39], 0, v4
	s_waitcnt lgkmcnt(0)
	v_addc_co_u32_e64 v3, s[38:39], v5, v3, s[38:39]
.LBB2_27:                               ;   in Loop: Header=BB2_3 Depth=1
	s_or_b64 exec, exec, s[50:51]
	s_waitcnt lgkmcnt(1)
	ds_bpermute_b32 v8, v19, v4
	s_waitcnt lgkmcnt(1)
	ds_bpermute_b32 v5, v19, v3
	s_and_saveexec_b64 s[50:51], s[8:9]
	s_cbranch_execz .LBB2_29
; %bb.28:                               ;   in Loop: Header=BB2_3 Depth=1
	s_waitcnt lgkmcnt(1)
	v_add_co_u32_e64 v4, s[38:39], v2, v8
	v_addc_co_u32_e64 v3, s[38:39], 0, v3, s[38:39]
	v_add_co_u32_e64 v2, s[38:39], 0, v4
	s_waitcnt lgkmcnt(0)
	v_addc_co_u32_e64 v3, s[38:39], v5, v3, s[38:39]
.LBB2_29:                               ;   in Loop: Header=BB2_3 Depth=1
	s_or_b64 exec, exec, s[50:51]
	s_waitcnt lgkmcnt(1)
	ds_bpermute_b32 v8, v20, v4
	s_waitcnt lgkmcnt(1)
	ds_bpermute_b32 v5, v20, v3
	s_and_saveexec_b64 s[50:51], s[10:11]
	s_cbranch_execz .LBB2_31
; %bb.30:                               ;   in Loop: Header=BB2_3 Depth=1
	s_waitcnt lgkmcnt(1)
	v_add_co_u32_e64 v4, s[38:39], v2, v8
	v_addc_co_u32_e64 v3, s[38:39], 0, v3, s[38:39]
	v_add_co_u32_e64 v2, s[38:39], 0, v4
	s_waitcnt lgkmcnt(0)
	v_addc_co_u32_e64 v3, s[38:39], v5, v3, s[38:39]
.LBB2_31:                               ;   in Loop: Header=BB2_3 Depth=1
	s_or_b64 exec, exec, s[50:51]
	ds_bpermute_b32 v4, v21, v4
	s_waitcnt lgkmcnt(1)
	ds_bpermute_b32 v5, v21, v3
	s_waitcnt lgkmcnt(1)
	v_add_co_u32_e64 v4, s[38:39], v2, v4
	v_addc_co_u32_e64 v8, s[38:39], 0, v3, s[38:39]
	v_add_co_u32_e64 v4, s[38:39], 0, v4
	s_waitcnt lgkmcnt(0)
	v_addc_co_u32_e64 v5, s[38:39], v8, v5, s[38:39]
	s_and_saveexec_b64 s[38:39], s[14:15]
	s_cbranch_execz .LBB2_33
; %bb.32:                               ;   in Loop: Header=BB2_3 Depth=1
	ds_write_b64 v33, v[4:5]
.LBB2_33:                               ;   in Loop: Header=BB2_3 Depth=1
	s_or_b64 exec, exec, s[38:39]
	s_waitcnt lgkmcnt(0)
	s_barrier
	s_and_saveexec_b64 s[50:51], s[16:17]
	s_cbranch_execz .LBB2_35
; %bb.34:                               ;   in Loop: Header=BB2_3 Depth=1
	ds_read_b64 v[12:13], v34
	s_waitcnt lgkmcnt(0)
	ds_bpermute_b32 v14, v16, v12
	ds_bpermute_b32 v8, v16, v13
	s_waitcnt lgkmcnt(1)
	v_cndmask_b32_e64 v14, v14, 0, vcc
	s_waitcnt lgkmcnt(0)
	v_cndmask_b32_e64 v8, v8, 0, vcc
	v_add_co_u32_e64 v12, s[38:39], v14, v12
	v_addc_co_u32_e64 v8, s[38:39], v8, v13, s[38:39]
	ds_bpermute_b32 v14, v17, v12
	ds_bpermute_b32 v13, v17, v8
	s_waitcnt lgkmcnt(1)
	v_cndmask_b32_e64 v14, v14, 0, s[22:23]
	s_waitcnt lgkmcnt(0)
	v_cndmask_b32_e64 v13, v13, 0, s[22:23]
	v_add_co_u32_e64 v12, s[38:39], v14, v12
	v_addc_co_u32_e64 v8, s[38:39], v13, v8, s[38:39]
	ds_bpermute_b32 v14, v18, v12
	ds_bpermute_b32 v13, v18, v8
	s_waitcnt lgkmcnt(1)
	v_cndmask_b32_e64 v14, v14, 0, s[24:25]
	s_waitcnt lgkmcnt(0)
	v_cndmask_b32_e64 v13, v13, 0, s[24:25]
	;; [unrolled: 8-line block ×5, first 2 shown]
	v_add_co_u32_e64 v12, s[38:39], v14, v12
	v_addc_co_u32_e64 v13, s[38:39], v13, v8, s[38:39]
	ds_write_b64 v34, v[12:13]
.LBB2_35:                               ;   in Loop: Header=BB2_3 Depth=1
	s_or_b64 exec, exec, s[50:51]
	v_cndmask_b32_e64 v3, v5, v3, s[30:31]
	v_cndmask_b32_e64 v2, v4, v2, s[30:31]
	s_waitcnt lgkmcnt(0)
	s_barrier
	s_and_saveexec_b64 s[50:51], s[18:19]
	s_cbranch_execz .LBB2_37
; %bb.36:                               ;   in Loop: Header=BB2_3 Depth=1
	ds_read_b64 v[4:5], v26
	s_waitcnt lgkmcnt(0)
	v_add_co_u32_e64 v2, s[38:39], v4, v2
	v_addc_co_u32_e64 v3, s[38:39], v5, v3, s[38:39]
.LBB2_37:                               ;   in Loop: Header=BB2_3 Depth=1
	s_or_b64 exec, exec, s[50:51]
	ds_write_b64 v25, v[2:3]
	s_waitcnt lgkmcnt(0)
	s_barrier
	ds_read_b64 v[12:13], v28
	ds_read_b64 v[14:15], v29 offset:496
	ds_read_b128 v[2:5], v29
	ds_read_b128 v[36:39], v29 offset:480
	s_mov_b32 s50, s46
	s_waitcnt lgkmcnt(3)
	v_lshrrev_b64 v[12:13], v6, v[12:13]
	v_lshlrev_b32_e32 v8, 1, v12
	v_and_b32_e32 v8, 2, v8
	s_waitcnt lgkmcnt(2)
	v_lshrrev_b64 v[12:13], v6, v[14:15]
	v_and_or_b32 v8, v12, 1, v8
	ds_read_b128 v[12:15], v29 offset:464
	s_waitcnt lgkmcnt(1)
	v_lshrrev_b64 v[38:39], v6, v[38:39]
	v_lshlrev_b32_e32 v35, 1, v38
	v_and_b32_e32 v35, 2, v35
	v_lshl_or_b32 v8, v8, 2, v35
	v_lshrrev_b64 v[36:37], v6, v[36:37]
	s_waitcnt lgkmcnt(0)
	v_lshrrev_b64 v[14:15], v6, v[14:15]
	v_and_or_b32 v8, v36, 1, v8
	v_lshlrev_b32_e32 v14, 1, v14
	ds_read_b128 v[36:39], v29 offset:448
	v_and_b32_e32 v14, 2, v14
	v_lshl_or_b32 v8, v8, 2, v14
	v_lshrrev_b64 v[12:13], v6, v[12:13]
	v_and_or_b32 v8, v12, 1, v8
	ds_read_b128 v[12:15], v29 offset:432
	s_waitcnt lgkmcnt(1)
	v_lshrrev_b64 v[38:39], v6, v[38:39]
	v_lshlrev_b64 v[40:41], 2, v[8:9]
	v_lshlrev_b32_e32 v8, 1, v38
	v_lshrrev_b64 v[36:37], v6, v[36:37]
	v_and_or_b32 v8, v8, 2, v40
	v_and_b32_e32 v35, 1, v36
	v_or_b32_e32 v40, v35, v8
	s_waitcnt lgkmcnt(0)
	v_lshrrev_b64 v[14:15], v6, v[14:15]
	ds_read_b128 v[36:39], v29 offset:416
	v_lshlrev_b64 v[40:41], 2, v[40:41]
	v_lshlrev_b32_e32 v8, 1, v14
	v_lshrrev_b64 v[12:13], v6, v[12:13]
	v_and_or_b32 v8, v8, 2, v40
	v_and_b32_e32 v12, 1, v12
	v_or_b32_e32 v40, v12, v8
	ds_read_b128 v[12:15], v29 offset:400
	s_waitcnt lgkmcnt(1)
	v_lshrrev_b64 v[38:39], v6, v[38:39]
	v_lshlrev_b64 v[40:41], 2, v[40:41]
	v_lshlrev_b32_e32 v8, 1, v38
	v_lshrrev_b64 v[36:37], v6, v[36:37]
	v_and_or_b32 v8, v8, 2, v40
	v_and_b32_e32 v35, 1, v36
	v_or_b32_e32 v40, v35, v8
	s_waitcnt lgkmcnt(0)
	v_lshrrev_b64 v[14:15], v6, v[14:15]
	ds_read_b128 v[36:39], v29 offset:384
	v_lshlrev_b64 v[40:41], 2, v[40:41]
	v_lshlrev_b32_e32 v8, 1, v14
	v_lshrrev_b64 v[12:13], v6, v[12:13]
	v_and_or_b32 v8, v8, 2, v40
	v_and_b32_e32 v12, 1, v12
	v_or_b32_e32 v40, v12, v8
	;; [unrolled: 18-line block ×12, first 2 shown]
	ds_read_b128 v[12:15], v29 offset:48
	s_waitcnt lgkmcnt(1)
	v_lshrrev_b64 v[38:39], v6, v[38:39]
	v_lshrrev_b64 v[36:37], v6, v[36:37]
	v_lshlrev_b64 v[44:45], 2, v[40:41]
	v_lshlrev_b32_e32 v8, 1, v38
	v_and_b32_e32 v35, 1, v36
	ds_read_b128 v[36:39], v29 offset:16
	ds_read_b128 v[40:43], v29 offset:32
	v_and_or_b32 v8, v8, 2, v44
	v_or_b32_e32 v44, v35, v8
	s_waitcnt lgkmcnt(2)
	v_lshrrev_b64 v[14:15], v6, v[14:15]
	v_lshlrev_b64 v[44:45], 2, v[44:45]
	v_lshlrev_b32_e32 v8, 1, v14
	v_lshrrev_b64 v[12:13], v6, v[12:13]
	v_and_or_b32 v8, v8, 2, v44
	v_and_b32_e32 v12, 1, v12
	v_or_b32_e32 v44, v12, v8
	s_waitcnt lgkmcnt(0)
	v_lshrrev_b64 v[12:13], v6, v[42:43]
	v_lshlrev_b64 v[14:15], 2, v[44:45]
	v_lshlrev_b32_e32 v8, 1, v12
	v_lshrrev_b64 v[12:13], v6, v[40:41]
	v_and_or_b32 v8, v8, 2, v14
	v_and_b32_e32 v12, 1, v12
	v_or_b32_e32 v14, v12, v8
	v_lshrrev_b64 v[12:13], v6, v[38:39]
	v_lshlrev_b64 v[14:15], 2, v[14:15]
	v_lshlrev_b32_e32 v8, 1, v12
	v_lshrrev_b64 v[12:13], v6, v[36:37]
	v_and_or_b32 v8, v8, 2, v14
	v_and_b32_e32 v12, 1, v12
	v_or_b32_e32 v14, v12, v8
	;; [unrolled: 7-line block ×3, first 2 shown]
	v_pk_mov_b32 v[2:3], v[4:5], v[4:5] op_sel:[0,1]
.LBB2_38:                               ;   Parent Loop BB2_3 Depth=1
                                        ; =>  This Inner Loop Header: Depth=2
	v_subrev_u32_e32 v8, s50, v1
	v_cmp_lt_i32_e64 s[38:39], v8, v7
	v_cndmask_b32_e64 v8, v8, v1, s[38:39]
	v_lshlrev_b32_e32 v8, 2, v8
	ds_bpermute_b32 v12, v8, v2
	ds_bpermute_b32 v8, v8, v3
	s_waitcnt lgkmcnt(1)
	v_add_co_u32_e64 v12, s[38:39], v2, v12
	v_addc_co_u32_e64 v13, s[38:39], 0, v3, s[38:39]
	v_add_co_u32_e64 v12, s[38:39], 0, v12
	s_waitcnt lgkmcnt(0)
	v_addc_co_u32_e64 v8, s[38:39], v13, v8, s[38:39]
	v_cmp_gt_u32_e64 s[38:39], s50, v6
	v_cndmask_b32_e64 v5, v8, v5, s[38:39]
	v_cndmask_b32_e64 v4, v12, v4, s[38:39]
	;; [unrolled: 1-line block ×4, first 2 shown]
	s_lshl_b32 s38, s50, 1
	s_cmp_gt_u32 s50, 31
	s_mov_b32 s50, s38
	s_cbranch_scc0 .LBB2_38
; %bb.39:                               ;   in Loop: Header=BB2_3 Depth=1
	s_and_saveexec_b64 s[38:39], s[34:35]
	s_cbranch_execz .LBB2_41
; %bb.40:                               ;   in Loop: Header=BB2_3 Depth=1
	ds_write_b64 v30, v[4:5]
.LBB2_41:                               ;   in Loop: Header=BB2_3 Depth=1
	s_or_b64 exec, exec, s[38:39]
	s_waitcnt lgkmcnt(0)
	s_barrier
	s_and_saveexec_b64 s[50:51], s[36:37]
	s_cbranch_execz .LBB2_43
; %bb.42:                               ;   in Loop: Header=BB2_3 Depth=1
	ds_read_b64 v[2:3], v27
	s_waitcnt lgkmcnt(0)
	ds_bpermute_b32 v12, v16, v2
	ds_bpermute_b32 v8, v16, v3
	s_waitcnt lgkmcnt(1)
	v_cndmask_b32_e64 v12, v12, 0, vcc
	s_waitcnt lgkmcnt(0)
	v_cndmask_b32_e64 v8, v8, 0, vcc
	v_add_co_u32_e64 v2, s[38:39], v12, v2
	v_addc_co_u32_e64 v3, s[38:39], v8, v3, s[38:39]
	ds_bpermute_b32 v12, v17, v2
	ds_bpermute_b32 v8, v17, v3
	s_waitcnt lgkmcnt(1)
	v_cndmask_b32_e64 v12, v12, 0, s[22:23]
	s_waitcnt lgkmcnt(0)
	v_cndmask_b32_e64 v8, v8, 0, s[22:23]
	v_add_co_u32_e64 v2, s[38:39], v12, v2
	v_addc_co_u32_e64 v3, s[38:39], v8, v3, s[38:39]
	ds_bpermute_b32 v12, v18, v2
	ds_bpermute_b32 v8, v18, v3
	s_waitcnt lgkmcnt(1)
	v_cndmask_b32_e64 v12, v12, 0, s[24:25]
	s_waitcnt lgkmcnt(0)
	v_cndmask_b32_e64 v8, v8, 0, s[24:25]
	;; [unrolled: 8-line block ×5, first 2 shown]
	v_add_co_u32_e64 v2, s[38:39], v12, v2
	v_addc_co_u32_e64 v3, s[38:39], v8, v3, s[38:39]
	ds_write_b64 v27, v[2:3]
.LBB2_43:                               ;   in Loop: Header=BB2_3 Depth=1
	s_or_b64 exec, exec, s[50:51]
	s_waitcnt lgkmcnt(0)
	s_barrier
	s_and_saveexec_b64 s[50:51], s[18:19]
	s_cbranch_execnz .LBB2_45
; %bb.44:                               ;   in Loop: Header=BB2_3 Depth=1
	s_or_b64 exec, exec, s[50:51]
	v_cmp_gt_i32_e64 s[38:39], s47, v10
	s_and_saveexec_b64 s[50:51], s[38:39]
	s_cbranch_execz .LBB2_2
	s_branch .LBB2_46
.LBB2_45:                               ;   in Loop: Header=BB2_3 Depth=1
	ds_read_b64 v[2:3], v31
	s_waitcnt lgkmcnt(0)
	v_add_co_u32_e64 v4, s[38:39], v2, v4
	v_addc_co_u32_e64 v5, s[38:39], v3, v5, s[38:39]
	s_or_b64 exec, exec, s[50:51]
	v_cmp_gt_i32_e64 s[38:39], s47, v10
	s_and_saveexec_b64 s[50:51], s[38:39]
	s_cbranch_execz .LBB2_2
.LBB2_46:                               ;   in Loop: Header=BB2_3 Depth=1
	v_lshlrev_b64 v[2:3], 3, v[10:11]
	v_mov_b32_e32 v8, s41
	v_add_co_u32_e64 v2, s[38:39], s40, v2
	v_addc_co_u32_e64 v3, s[38:39], v8, v3, s[38:39]
	global_store_dwordx2 v[2:3], v[4:5], off
	s_branch .LBB2_2
.LBB2_47:
	s_endpgm
	.section	.rodata,"a",@progbits
	.p2align	6, 0x0
	.amdhsa_kernel _ZL13MPCdecompressILi64EEvPlS0_PVi
		.amdhsa_group_segment_fixed_size 16392
		.amdhsa_private_segment_fixed_size 0
		.amdhsa_kernarg_size 280
		.amdhsa_user_sgpr_count 6
		.amdhsa_user_sgpr_private_segment_buffer 1
		.amdhsa_user_sgpr_dispatch_ptr 0
		.amdhsa_user_sgpr_queue_ptr 0
		.amdhsa_user_sgpr_kernarg_segment_ptr 1
		.amdhsa_user_sgpr_dispatch_id 0
		.amdhsa_user_sgpr_flat_scratch_init 0
		.amdhsa_user_sgpr_kernarg_preload_length 0
		.amdhsa_user_sgpr_kernarg_preload_offset 0
		.amdhsa_user_sgpr_private_segment_size 0
		.amdhsa_uses_dynamic_stack 0
		.amdhsa_system_sgpr_private_segment_wavefront_offset 0
		.amdhsa_system_sgpr_workgroup_id_x 1
		.amdhsa_system_sgpr_workgroup_id_y 0
		.amdhsa_system_sgpr_workgroup_id_z 0
		.amdhsa_system_sgpr_workgroup_info 0
		.amdhsa_system_vgpr_workitem_id 0
		.amdhsa_next_free_vgpr 46
		.amdhsa_next_free_sgpr 58
		.amdhsa_accum_offset 48
		.amdhsa_reserve_vcc 1
		.amdhsa_reserve_flat_scratch 0
		.amdhsa_float_round_mode_32 0
		.amdhsa_float_round_mode_16_64 0
		.amdhsa_float_denorm_mode_32 3
		.amdhsa_float_denorm_mode_16_64 3
		.amdhsa_dx10_clamp 1
		.amdhsa_ieee_mode 1
		.amdhsa_fp16_overflow 0
		.amdhsa_tg_split 0
		.amdhsa_exception_fp_ieee_invalid_op 0
		.amdhsa_exception_fp_denorm_src 0
		.amdhsa_exception_fp_ieee_div_zero 0
		.amdhsa_exception_fp_ieee_overflow 0
		.amdhsa_exception_fp_ieee_underflow 0
		.amdhsa_exception_fp_ieee_inexact 0
		.amdhsa_exception_int_div_zero 0
	.end_amdhsa_kernel
	.section	.text._ZL13MPCdecompressILi64EEvPlS0_PVi,"axG",@progbits,_ZL13MPCdecompressILi64EEvPlS0_PVi,comdat
.Lfunc_end2:
	.size	_ZL13MPCdecompressILi64EEvPlS0_PVi, .Lfunc_end2-_ZL13MPCdecompressILi64EEvPlS0_PVi
                                        ; -- End function
	.section	.AMDGPU.csdata,"",@progbits
; Kernel info:
; codeLenInByte = 4824
; NumSgprs: 62
; NumVgprs: 46
; NumAgprs: 0
; TotalNumVgprs: 46
; ScratchSize: 0
; MemoryBound: 0
; FloatMode: 240
; IeeeMode: 1
; LDSByteSize: 16392 bytes/workgroup (compile time only)
; SGPRBlocks: 7
; VGPRBlocks: 5
; NumSGPRsForWavesPerEU: 62
; NumVGPRsForWavesPerEU: 46
; AccumOffset: 48
; Occupancy: 8
; WaveLimiterHint : 0
; COMPUTE_PGM_RSRC2:SCRATCH_EN: 0
; COMPUTE_PGM_RSRC2:USER_SGPR: 6
; COMPUTE_PGM_RSRC2:TRAP_HANDLER: 0
; COMPUTE_PGM_RSRC2:TGID_X_EN: 1
; COMPUTE_PGM_RSRC2:TGID_Y_EN: 0
; COMPUTE_PGM_RSRC2:TGID_Z_EN: 0
; COMPUTE_PGM_RSRC2:TIDIG_COMP_CNT: 0
; COMPUTE_PGM_RSRC3_GFX90A:ACCUM_OFFSET: 11
; COMPUTE_PGM_RSRC3_GFX90A:TG_SPLIT: 0
	.section	.text._ZL13MPCdecompressILi32EEvPlS0_PVi,"axG",@progbits,_ZL13MPCdecompressILi32EEvPlS0_PVi,comdat
	.globl	_ZL13MPCdecompressILi32EEvPlS0_PVi ; -- Begin function _ZL13MPCdecompressILi32EEvPlS0_PVi
	.p2align	8
	.type	_ZL13MPCdecompressILi32EEvPlS0_PVi,@function
_ZL13MPCdecompressILi32EEvPlS0_PVi:     ; @_ZL13MPCdecompressILi32EEvPlS0_PVi
; %bb.0:
	s_load_dwordx2 s[40:41], s[4:5], 0x0
	s_movk_i32 s7, 0x3ff
	s_waitcnt lgkmcnt(0)
	s_load_dwordx2 s[42:43], s[40:41], 0x0
	s_waitcnt lgkmcnt(0)
	s_add_i32 s0, s43, 0x3ff
	s_ashr_i32 s1, s0, 31
	s_lshr_b32 s1, s1, 22
	s_add_i32 s0, s0, s1
	s_ashr_i32 s33, s0, 10
	s_cmp_ge_i32 s6, s33
	s_cbranch_scc1 .LBB3_45
; %bb.1:
	v_mbcnt_lo_u32_b32 v3, -1, 0
	v_mbcnt_hi_u32_b32 v7, -1, v3
	v_and_b32_e32 v16, 64, v7
	v_add_u32_e32 v3, -1, v7
	v_cmp_lt_i32_e32 vcc, v3, v16
	v_cndmask_b32_e32 v3, v3, v7, vcc
	v_lshlrev_b32_e32 v17, 2, v3
	v_add_u32_e32 v3, -2, v7
	v_cmp_lt_i32_e32 vcc, v3, v16
	v_cndmask_b32_e32 v3, v3, v7, vcc
	s_add_i32 s0, s43, 63
	v_lshlrev_b32_e32 v18, 2, v3
	v_add_u32_e32 v3, -4, v7
	s_load_dwordx4 s[36:39], s[4:5], 0x8
	s_load_dword s52, s[4:5], 0x18
	s_ashr_i32 s1, s0, 31
	v_cmp_lt_i32_e32 vcc, v3, v16
	s_lshr_b32 s1, s1, 26
	v_cndmask_b32_e32 v3, v3, v7, vcc
	s_add_i32 s0, s0, s1
	v_lshlrev_b32_e32 v19, 2, v3
	v_add_u32_e32 v3, -8, v7
	s_ashr_i32 s53, s0, 6
	s_add_i32 s0, s43, -1
	v_cmp_lt_i32_e32 vcc, v3, v16
	s_add_i32 s53, s53, 1
	s_or_b32 s54, s0, 63
	s_add_i32 s0, s6, 1
	v_cndmask_b32_e32 v3, v3, v7, vcc
	s_waitcnt lgkmcnt(0)
	s_cmp_lg_u32 s0, s52
	v_lshlrev_b32_e32 v20, 2, v3
	v_add_u32_e32 v3, -16, v7
	s_cselect_b32 s22, s0, 0
	s_and_b32 s30, s42, 31
	v_cmp_lt_i32_e32 vcc, v3, v16
	s_add_i32 s42, s30, 1
	v_and_b32_e32 v1, 31, v0
	v_cndmask_b32_e32 v3, v3, v7, vcc
	v_lshlrev_b32_e32 v21, 2, v3
	v_lshrrev_b32_e32 v3, 5, v0
	v_add_u32_e32 v8, s42, v1
	v_lshlrev_b32_e32 v5, 3, v3
	v_cmp_ne_u16_e64 s[46:47], s30, 31
	v_cmp_lt_u32_e64 s[30:31], 31, v8
	v_mul_u32_u24_e32 v8, s42, v1
	v_lshl_add_u32 v27, v8, 3, v5
	v_cvt_f32_ubyte0_e32 v8, s42
	v_add_u32_e32 v26, -8, v5
	v_cvt_f32_u32_e32 v5, v0
	v_rcp_iflag_f32_e32 v10, v8
	v_lshlrev_b32_e32 v4, 3, v0
	v_and_b32_e32 v2, 0x3c0, v0
	v_or_b32_e32 v25, 0x2000, v4
	v_or_b32_e32 v28, 0x21f8, v4
	v_mov_b32_e32 v4, 0x2000
	v_lshl_or_b32 v29, v2, 3, v4
	v_mul_f32_e32 v2, v5, v10
	v_trunc_f32_e32 v2, v2
	v_cvt_u32_f32_e32 v4, v2
	v_cmp_eq_u32_e64 s[20:21], s7, v0
	s_ashr_i32 s7, s6, 31
	v_mad_f32 v2, -v2, v8, v5
	s_lshl_b64 s[24:25], s[6:7], 2
	v_cmp_ge_f32_e64 vcc, |v2|, v8
	s_add_u32 s44, s38, s24
	v_addc_co_u32_e32 v2, vcc, 0, v4, vcc
	s_addc_u32 s45, s39, s25
	s_ashr_i32 s23, s22, 31
	v_mul_lo_u32 v2, v2, s42
	s_lshl_b64 s[22:23], s[22:23], 2
	v_sub_u32_e32 v2, v0, v2
	s_add_u32 s38, s38, s22
	v_and_b32_e32 v2, 0x3ff, v2
	s_addc_u32 s39, s39, s23
	v_mad_u32_u24 v2, v3, s42, v2
	v_lshlrev_b32_e32 v22, 2, v3
	v_lshlrev_b32_e32 v23, 2, v1
	s_add_u32 s7, s40, 8
	v_lshlrev_b32_e32 v30, 3, v2
	v_subrev_u32_e32 v2, s42, v2
	v_and_b32_e32 v6, 63, v0
	v_mov_b32_e32 v9, 0
	v_cmp_eq_u32_e64 s[0:1], 0, v1
	v_cmp_ne_u32_e64 s[2:3], 0, v1
	v_cmp_lt_u32_e64 s[4:5], 1, v1
	v_cmp_lt_u32_e64 s[8:9], 3, v1
	;; [unrolled: 1-line block ×4, first 2 shown]
	v_cmp_eq_u32_e64 s[14:15], 31, v1
	v_cmp_gt_u32_e64 s[16:17], 32, v0
	v_cmp_lt_u32_e64 s[18:19], 31, v0
	v_add_u32_e32 v24, -4, v22
	v_cmp_gt_u32_e64 s[22:23], 2, v1
	v_cmp_gt_u32_e64 s[24:25], 4, v1
	;; [unrolled: 1-line block ×5, first 2 shown]
	s_addc_u32 s55, s41, 0
	v_lshlrev_b32_e32 v31, 3, v2
	v_mov_b32_e32 v32, -1
	v_add_u32_e32 v33, v22, v22
	v_add_u32_e32 v34, v23, v23
	s_branch .LBB3_3
.LBB3_2:                                ;   in Loop: Header=BB3_3 Depth=1
	s_or_b64 exec, exec, s[48:49]
	s_add_i32 s6, s6, s52
	s_cmp_ge_i32 s6, s33
	s_cbranch_scc1 .LBB3_45
.LBB3_3:                                ; =>This Loop Header: Depth=1
                                        ;     Child Loop BB3_14 Depth 2
                                        ;     Child Loop BB3_36 Depth 2
	v_lshl_or_b32 v10, s6, 10, v0
	v_cmp_ge_i32_e32 vcc, s54, v10
	v_ashrrev_i32_e32 v11, 31, v10
	v_mov_b32_e32 v2, 0
	s_and_saveexec_b64 s[48:49], vcc
	s_cbranch_execz .LBB3_5
; %bb.4:                                ;   in Loop: Header=BB3_3 Depth=1
	v_lshrrev_b32_e32 v2, 26, v11
	v_add_u32_e32 v2, v10, v2
	v_ashrrev_i32_e32 v2, 6, v2
	v_ashrrev_i32_e32 v3, 31, v2
	v_lshlrev_b64 v[2:3], 3, v[2:3]
	v_mov_b32_e32 v4, s55
	v_add_co_u32_e32 v2, vcc, s7, v2
	v_addc_co_u32_e32 v3, vcc, v4, v3, vcc
	global_load_dwordx2 v[2:3], v[2:3], off
	s_waitcnt vmcnt(0)
	v_lshrrev_b64 v[2:3], v6, v[2:3]
	v_and_b32_e32 v2, 1, v2
.LBB3_5:                                ;   in Loop: Header=BB3_3 Depth=1
	s_or_b64 exec, exec, s[48:49]
	ds_bpermute_b32 v3, v17, v2
	s_waitcnt lgkmcnt(0)
	s_barrier
	v_cndmask_b32_e64 v3, v3, 0, s[0:1]
	v_add_u32_e32 v3, v3, v2
	ds_bpermute_b32 v4, v18, v3
	s_waitcnt lgkmcnt(0)
	v_cndmask_b32_e64 v4, 0, v4, s[4:5]
	v_add_u32_e32 v3, v3, v4
	ds_bpermute_b32 v4, v19, v3
	s_waitcnt lgkmcnt(0)
	;; [unrolled: 4-line block ×4, first 2 shown]
	v_cndmask_b32_e64 v4, 0, v4, s[12:13]
	v_add_u32_e32 v3, v3, v4
	s_and_saveexec_b64 s[48:49], s[14:15]
	s_cbranch_execz .LBB3_7
; %bb.6:                                ;   in Loop: Header=BB3_3 Depth=1
	ds_write_b32 v22, v3
.LBB3_7:                                ;   in Loop: Header=BB3_3 Depth=1
	s_or_b64 exec, exec, s[48:49]
	s_waitcnt lgkmcnt(0)
	s_barrier
	s_and_saveexec_b64 s[48:49], s[16:17]
	s_cbranch_execz .LBB3_9
; %bb.8:                                ;   in Loop: Header=BB3_3 Depth=1
	ds_read_b32 v4, v23
	s_waitcnt lgkmcnt(0)
	ds_bpermute_b32 v5, v17, v4
	s_waitcnt lgkmcnt(0)
	v_cndmask_b32_e64 v5, v5, 0, s[0:1]
	v_add_u32_e32 v4, v5, v4
	ds_bpermute_b32 v5, v18, v4
	s_waitcnt lgkmcnt(0)
	v_cndmask_b32_e64 v5, 0, v5, s[4:5]
	v_add_u32_e32 v4, v5, v4
	;; [unrolled: 4-line block ×5, first 2 shown]
	ds_write_b32 v23, v4
.LBB3_9:                                ;   in Loop: Header=BB3_3 Depth=1
	s_or_b64 exec, exec, s[48:49]
	v_cndmask_b32_e64 v4, v3, v2, s[0:1]
	s_waitcnt lgkmcnt(0)
	s_barrier
	s_and_saveexec_b64 s[48:49], s[18:19]
	s_cbranch_execz .LBB3_11
; %bb.10:                               ;   in Loop: Header=BB3_3 Depth=1
	ds_read_b32 v3, v24
	s_waitcnt lgkmcnt(0)
	v_add_u32_e32 v4, v3, v4
.LBB3_11:                               ;   in Loop: Header=BB3_3 Depth=1
	s_or_b64 exec, exec, s[48:49]
	s_and_saveexec_b64 s[48:49], s[20:21]
	s_cbranch_execz .LBB3_17
; %bb.12:                               ;   in Loop: Header=BB3_3 Depth=1
	s_cmp_lt_i32 s6, 1
	v_mov_b32_e32 v5, s53
	s_cbranch_scc1 .LBB3_16
; %bb.13:                               ;   in Loop: Header=BB3_3 Depth=1
	s_mov_b64 s[50:51], 0
.LBB3_14:                               ;   Parent Loop BB3_3 Depth=1
                                        ; =>  This Inner Loop Header: Depth=2
	v_pk_mov_b32 v[12:13], s[44:45], s[44:45] op_sel:[0,1]
	flat_load_dword v5, v[12:13] glc
	s_waitcnt vmcnt(0) lgkmcnt(0)
	v_cmp_lt_i32_e32 vcc, -1, v5
	s_or_b64 s[50:51], vcc, s[50:51]
	s_andn2_b64 exec, exec, s[50:51]
	s_cbranch_execnz .LBB3_14
; %bb.15:                               ;   in Loop: Header=BB3_3 Depth=1
	s_or_b64 exec, exec, s[50:51]
.LBB3_16:                               ;   in Loop: Header=BB3_3 Depth=1
	v_add_u32_e32 v3, v5, v4
	v_pk_mov_b32 v[12:13], s[38:39], s[38:39] op_sel:[0,1]
	flat_store_dword v[12:13], v3
	s_waitcnt vmcnt(0)
	v_pk_mov_b32 v[12:13], s[44:45], s[44:45] op_sel:[0,1]
	flat_store_dword v[12:13], v32
	s_waitcnt vmcnt(0)
	ds_write_b64 v9, v[4:5] offset:16384
.LBB3_17:                               ;   in Loop: Header=BB3_3 Depth=1
	s_or_b64 exec, exec, s[48:49]
	s_waitcnt lgkmcnt(0)
	s_barrier
	ds_read_b32 v3, v9 offset:16384
	s_waitcnt lgkmcnt(0)
	v_cmp_lt_i32_e32 vcc, v0, v3
	s_and_saveexec_b64 s[48:49], vcc
	s_cbranch_execz .LBB3_19
; %bb.18:                               ;   in Loop: Header=BB3_3 Depth=1
	ds_read_b32 v3, v9 offset:16388
	v_mov_b32_e32 v5, s41
	s_waitcnt lgkmcnt(0)
	v_add_u32_e32 v12, v3, v0
	v_ashrrev_i32_e32 v13, 31, v12
	v_lshlrev_b64 v[12:13], 3, v[12:13]
	v_add_co_u32_e32 v12, vcc, s40, v12
	v_addc_co_u32_e32 v13, vcc, v5, v13, vcc
	global_load_dwordx2 v[12:13], v[12:13], off
	s_waitcnt vmcnt(0)
	ds_write_b64 v25, v[12:13]
.LBB3_19:                               ;   in Loop: Header=BB3_3 Depth=1
	s_or_b64 exec, exec, s[48:49]
	v_cmp_ne_u32_e32 vcc, 0, v2
	v_pk_mov_b32 v[2:3], 0, 0
	s_waitcnt lgkmcnt(0)
	s_barrier
	s_and_saveexec_b64 s[48:49], vcc
	s_cbranch_execz .LBB3_21
; %bb.20:                               ;   in Loop: Header=BB3_3 Depth=1
	v_lshlrev_b32_e32 v2, 3, v4
	ds_read_b64 v[2:3], v2 offset:8184
.LBB3_21:                               ;   in Loop: Header=BB3_3 Depth=1
	s_or_b64 exec, exec, s[48:49]
	s_waitcnt lgkmcnt(0)
	ds_bpermute_b32 v8, v17, v2
	ds_bpermute_b32 v5, v17, v3
	v_mov_b32_e32 v4, v2
	s_and_saveexec_b64 s[48:49], s[2:3]
	s_cbranch_execz .LBB3_23
; %bb.22:                               ;   in Loop: Header=BB3_3 Depth=1
	s_waitcnt lgkmcnt(1)
	v_add_co_u32_e32 v4, vcc, v2, v8
	v_addc_co_u32_e32 v3, vcc, 0, v3, vcc
	v_add_co_u32_e32 v2, vcc, 0, v4
	s_waitcnt lgkmcnt(0)
	v_addc_co_u32_e32 v3, vcc, v5, v3, vcc
.LBB3_23:                               ;   in Loop: Header=BB3_3 Depth=1
	s_or_b64 exec, exec, s[48:49]
	s_waitcnt lgkmcnt(1)
	ds_bpermute_b32 v8, v18, v4
	s_waitcnt lgkmcnt(1)
	ds_bpermute_b32 v5, v18, v3
	s_and_saveexec_b64 s[48:49], s[4:5]
	s_cbranch_execz .LBB3_25
; %bb.24:                               ;   in Loop: Header=BB3_3 Depth=1
	s_waitcnt lgkmcnt(1)
	v_add_co_u32_e32 v4, vcc, v2, v8
	v_addc_co_u32_e32 v3, vcc, 0, v3, vcc
	v_add_co_u32_e32 v2, vcc, 0, v4
	s_waitcnt lgkmcnt(0)
	v_addc_co_u32_e32 v3, vcc, v5, v3, vcc
.LBB3_25:                               ;   in Loop: Header=BB3_3 Depth=1
	s_or_b64 exec, exec, s[48:49]
	s_waitcnt lgkmcnt(1)
	ds_bpermute_b32 v8, v19, v4
	s_waitcnt lgkmcnt(1)
	ds_bpermute_b32 v5, v19, v3
	;; [unrolled: 15-line block ×3, first 2 shown]
	s_and_saveexec_b64 s[48:49], s[10:11]
	s_cbranch_execz .LBB3_29
; %bb.28:                               ;   in Loop: Header=BB3_3 Depth=1
	s_waitcnt lgkmcnt(1)
	v_add_co_u32_e32 v4, vcc, v2, v8
	v_addc_co_u32_e32 v3, vcc, 0, v3, vcc
	v_add_co_u32_e32 v2, vcc, 0, v4
	s_waitcnt lgkmcnt(0)
	v_addc_co_u32_e32 v3, vcc, v5, v3, vcc
.LBB3_29:                               ;   in Loop: Header=BB3_3 Depth=1
	s_or_b64 exec, exec, s[48:49]
	ds_bpermute_b32 v4, v21, v4
	s_waitcnt lgkmcnt(1)
	ds_bpermute_b32 v5, v21, v3
	s_waitcnt lgkmcnt(1)
	v_add_co_u32_e32 v4, vcc, v2, v4
	v_addc_co_u32_e32 v8, vcc, 0, v3, vcc
	v_add_co_u32_e32 v4, vcc, 0, v4
	s_waitcnt lgkmcnt(0)
	v_addc_co_u32_e32 v5, vcc, v8, v5, vcc
	s_and_saveexec_b64 s[48:49], s[14:15]
	s_cbranch_execz .LBB3_31
; %bb.30:                               ;   in Loop: Header=BB3_3 Depth=1
	ds_write_b64 v33, v[4:5]
.LBB3_31:                               ;   in Loop: Header=BB3_3 Depth=1
	s_or_b64 exec, exec, s[48:49]
	s_waitcnt lgkmcnt(0)
	s_barrier
	s_and_saveexec_b64 s[48:49], s[16:17]
	s_cbranch_execz .LBB3_33
; %bb.32:                               ;   in Loop: Header=BB3_3 Depth=1
	ds_read_b64 v[12:13], v34
	s_waitcnt lgkmcnt(0)
	ds_bpermute_b32 v14, v17, v12
	ds_bpermute_b32 v8, v17, v13
	s_waitcnt lgkmcnt(1)
	v_cndmask_b32_e64 v14, v14, 0, s[0:1]
	s_waitcnt lgkmcnt(0)
	v_cndmask_b32_e64 v8, v8, 0, s[0:1]
	v_add_co_u32_e32 v12, vcc, v14, v12
	v_addc_co_u32_e32 v8, vcc, v8, v13, vcc
	ds_bpermute_b32 v14, v18, v12
	ds_bpermute_b32 v13, v18, v8
	s_waitcnt lgkmcnt(1)
	v_cndmask_b32_e64 v14, v14, 0, s[22:23]
	s_waitcnt lgkmcnt(0)
	v_cndmask_b32_e64 v13, v13, 0, s[22:23]
	v_add_co_u32_e32 v12, vcc, v14, v12
	v_addc_co_u32_e32 v8, vcc, v13, v8, vcc
	;; [unrolled: 8-line block ×5, first 2 shown]
	ds_write_b64 v34, v[12:13]
.LBB3_33:                               ;   in Loop: Header=BB3_3 Depth=1
	s_or_b64 exec, exec, s[48:49]
	v_cndmask_b32_e64 v3, v5, v3, s[28:29]
	v_cndmask_b32_e64 v2, v4, v2, s[28:29]
	s_waitcnt lgkmcnt(0)
	s_barrier
	s_and_saveexec_b64 s[48:49], s[18:19]
	s_cbranch_execz .LBB3_35
; %bb.34:                               ;   in Loop: Header=BB3_3 Depth=1
	ds_read_b64 v[4:5], v26
	s_waitcnt lgkmcnt(0)
	v_add_co_u32_e32 v2, vcc, v4, v2
	v_addc_co_u32_e32 v3, vcc, v5, v3, vcc
.LBB3_35:                               ;   in Loop: Header=BB3_3 Depth=1
	s_or_b64 exec, exec, s[48:49]
	ds_write_b64 v25, v[2:3]
	s_waitcnt lgkmcnt(0)
	s_barrier
	ds_read_b64 v[12:13], v28
	ds_read_b64 v[14:15], v29 offset:496
	ds_read_b128 v[2:5], v29
	ds_read_b128 v[36:39], v29 offset:480
	s_andn2_b64 vcc, exec, s[46:47]
	s_waitcnt lgkmcnt(3)
	v_lshrrev_b64 v[12:13], v6, v[12:13]
	v_lshlrev_b32_e32 v8, 1, v12
	v_and_b32_e32 v8, 2, v8
	s_waitcnt lgkmcnt(2)
	v_lshrrev_b64 v[12:13], v6, v[14:15]
	v_and_or_b32 v8, v12, 1, v8
	ds_read_b128 v[12:15], v29 offset:464
	s_waitcnt lgkmcnt(1)
	v_lshrrev_b64 v[38:39], v6, v[38:39]
	v_lshlrev_b32_e32 v35, 1, v38
	v_and_b32_e32 v35, 2, v35
	v_lshl_or_b32 v8, v8, 2, v35
	v_lshrrev_b64 v[36:37], v6, v[36:37]
	s_waitcnt lgkmcnt(0)
	v_lshrrev_b64 v[14:15], v6, v[14:15]
	v_and_or_b32 v8, v36, 1, v8
	v_lshlrev_b32_e32 v14, 1, v14
	ds_read_b128 v[36:39], v29 offset:448
	v_and_b32_e32 v14, 2, v14
	v_lshl_or_b32 v8, v8, 2, v14
	v_lshrrev_b64 v[12:13], v6, v[12:13]
	v_and_or_b32 v8, v12, 1, v8
	ds_read_b128 v[12:15], v29 offset:432
	s_waitcnt lgkmcnt(1)
	v_lshrrev_b64 v[38:39], v6, v[38:39]
	v_lshlrev_b64 v[40:41], 2, v[8:9]
	v_lshlrev_b32_e32 v8, 1, v38
	v_lshrrev_b64 v[36:37], v6, v[36:37]
	v_and_or_b32 v8, v8, 2, v40
	v_and_b32_e32 v35, 1, v36
	v_or_b32_e32 v40, v35, v8
	s_waitcnt lgkmcnt(0)
	v_lshrrev_b64 v[14:15], v6, v[14:15]
	ds_read_b128 v[36:39], v29 offset:416
	v_lshlrev_b64 v[40:41], 2, v[40:41]
	v_lshlrev_b32_e32 v8, 1, v14
	v_lshrrev_b64 v[12:13], v6, v[12:13]
	v_and_or_b32 v8, v8, 2, v40
	v_and_b32_e32 v12, 1, v12
	v_or_b32_e32 v40, v12, v8
	ds_read_b128 v[12:15], v29 offset:400
	s_waitcnt lgkmcnt(1)
	v_lshrrev_b64 v[38:39], v6, v[38:39]
	v_lshlrev_b64 v[40:41], 2, v[40:41]
	v_lshlrev_b32_e32 v8, 1, v38
	v_lshrrev_b64 v[36:37], v6, v[36:37]
	v_and_or_b32 v8, v8, 2, v40
	v_and_b32_e32 v35, 1, v36
	v_or_b32_e32 v40, v35, v8
	s_waitcnt lgkmcnt(0)
	v_lshrrev_b64 v[14:15], v6, v[14:15]
	ds_read_b128 v[36:39], v29 offset:384
	v_lshlrev_b64 v[40:41], 2, v[40:41]
	v_lshlrev_b32_e32 v8, 1, v14
	v_lshrrev_b64 v[12:13], v6, v[12:13]
	v_and_or_b32 v8, v8, 2, v40
	v_and_b32_e32 v12, 1, v12
	v_or_b32_e32 v40, v12, v8
	;; [unrolled: 18-line block ×12, first 2 shown]
	ds_read_b128 v[12:15], v29 offset:48
	s_waitcnt lgkmcnt(1)
	v_lshrrev_b64 v[38:39], v6, v[38:39]
	v_lshrrev_b64 v[36:37], v6, v[36:37]
	v_lshlrev_b64 v[44:45], 2, v[40:41]
	v_lshlrev_b32_e32 v8, 1, v38
	v_and_b32_e32 v35, 1, v36
	ds_read_b128 v[36:39], v29 offset:16
	ds_read_b128 v[40:43], v29 offset:32
	v_and_or_b32 v8, v8, 2, v44
	v_or_b32_e32 v44, v35, v8
	s_waitcnt lgkmcnt(2)
	v_lshrrev_b64 v[14:15], v6, v[14:15]
	v_lshlrev_b64 v[44:45], 2, v[44:45]
	v_lshlrev_b32_e32 v8, 1, v14
	v_lshrrev_b64 v[12:13], v6, v[12:13]
	v_and_or_b32 v8, v8, 2, v44
	v_and_b32_e32 v12, 1, v12
	v_or_b32_e32 v44, v12, v8
	s_waitcnt lgkmcnt(0)
	v_lshrrev_b64 v[12:13], v6, v[42:43]
	v_lshlrev_b64 v[14:15], 2, v[44:45]
	v_lshlrev_b32_e32 v8, 1, v12
	v_lshrrev_b64 v[12:13], v6, v[40:41]
	v_and_or_b32 v8, v8, 2, v14
	v_and_b32_e32 v12, 1, v12
	v_or_b32_e32 v14, v12, v8
	v_lshrrev_b64 v[12:13], v6, v[38:39]
	v_lshlrev_b64 v[14:15], 2, v[14:15]
	v_lshlrev_b32_e32 v8, 1, v12
	v_lshrrev_b64 v[12:13], v6, v[36:37]
	v_and_or_b32 v8, v8, 2, v14
	v_and_b32_e32 v12, 1, v12
	v_or_b32_e32 v14, v12, v8
	;; [unrolled: 7-line block ×3, first 2 shown]
	s_mov_b32 s48, s42
	v_pk_mov_b32 v[2:3], v[4:5], v[4:5] op_sel:[0,1]
	s_cbranch_vccnz .LBB3_37
.LBB3_36:                               ;   Parent Loop BB3_3 Depth=1
                                        ; =>  This Inner Loop Header: Depth=2
	v_subrev_u32_e32 v8, s48, v7
	v_cmp_lt_i32_e32 vcc, v8, v16
	v_cndmask_b32_e32 v8, v8, v7, vcc
	v_lshlrev_b32_e32 v8, 2, v8
	ds_bpermute_b32 v12, v8, v2
	ds_bpermute_b32 v8, v8, v3
	s_lshl_b32 s49, s48, 1
	s_cmp_gt_u32 s48, 15
	s_waitcnt lgkmcnt(1)
	v_add_co_u32_e32 v12, vcc, v2, v12
	v_addc_co_u32_e32 v13, vcc, 0, v3, vcc
	v_add_co_u32_e32 v12, vcc, 0, v12
	s_waitcnt lgkmcnt(0)
	v_addc_co_u32_e32 v8, vcc, v13, v8, vcc
	v_cmp_gt_u32_e32 vcc, s48, v1
	v_cndmask_b32_e32 v5, v8, v5, vcc
	v_cndmask_b32_e32 v4, v12, v4, vcc
	;; [unrolled: 1-line block ×4, first 2 shown]
	s_mov_b32 s48, s49
	s_cbranch_scc0 .LBB3_36
.LBB3_37:                               ;   in Loop: Header=BB3_3 Depth=1
	s_and_saveexec_b64 s[48:49], s[30:31]
	s_cbranch_execz .LBB3_39
; %bb.38:                               ;   in Loop: Header=BB3_3 Depth=1
	ds_write_b64 v30, v[4:5]
.LBB3_39:                               ;   in Loop: Header=BB3_3 Depth=1
	s_or_b64 exec, exec, s[48:49]
	s_waitcnt lgkmcnt(0)
	s_barrier
	s_and_saveexec_b64 s[48:49], s[34:35]
	s_cbranch_execz .LBB3_41
; %bb.40:                               ;   in Loop: Header=BB3_3 Depth=1
	ds_read_b64 v[2:3], v27
	s_waitcnt lgkmcnt(0)
	ds_bpermute_b32 v12, v17, v2
	ds_bpermute_b32 v8, v17, v3
	s_waitcnt lgkmcnt(1)
	v_cndmask_b32_e64 v12, v12, 0, s[0:1]
	s_waitcnt lgkmcnt(0)
	v_cndmask_b32_e64 v8, v8, 0, s[0:1]
	v_add_co_u32_e32 v2, vcc, v12, v2
	v_addc_co_u32_e32 v3, vcc, v8, v3, vcc
	ds_bpermute_b32 v12, v18, v2
	ds_bpermute_b32 v8, v18, v3
	s_waitcnt lgkmcnt(1)
	v_cndmask_b32_e64 v12, v12, 0, s[22:23]
	s_waitcnt lgkmcnt(0)
	v_cndmask_b32_e64 v8, v8, 0, s[22:23]
	v_add_co_u32_e32 v2, vcc, v12, v2
	v_addc_co_u32_e32 v3, vcc, v8, v3, vcc
	ds_bpermute_b32 v12, v19, v2
	ds_bpermute_b32 v8, v19, v3
	s_waitcnt lgkmcnt(1)
	v_cndmask_b32_e64 v12, v12, 0, s[24:25]
	s_waitcnt lgkmcnt(0)
	v_cndmask_b32_e64 v8, v8, 0, s[24:25]
	v_add_co_u32_e32 v2, vcc, v12, v2
	v_addc_co_u32_e32 v3, vcc, v8, v3, vcc
	ds_bpermute_b32 v12, v20, v2
	ds_bpermute_b32 v8, v20, v3
	s_waitcnt lgkmcnt(1)
	v_cndmask_b32_e64 v12, v12, 0, s[26:27]
	s_waitcnt lgkmcnt(0)
	v_cndmask_b32_e64 v8, v8, 0, s[26:27]
	v_add_co_u32_e32 v2, vcc, v12, v2
	v_addc_co_u32_e32 v3, vcc, v8, v3, vcc
	ds_bpermute_b32 v12, v21, v2
	ds_bpermute_b32 v8, v21, v3
	s_waitcnt lgkmcnt(1)
	v_cndmask_b32_e64 v12, v12, 0, s[28:29]
	s_waitcnt lgkmcnt(0)
	v_cndmask_b32_e64 v8, v8, 0, s[28:29]
	v_add_co_u32_e32 v2, vcc, v12, v2
	v_addc_co_u32_e32 v3, vcc, v8, v3, vcc
	ds_write_b64 v27, v[2:3]
.LBB3_41:                               ;   in Loop: Header=BB3_3 Depth=1
	s_or_b64 exec, exec, s[48:49]
	s_waitcnt lgkmcnt(0)
	s_barrier
	s_and_saveexec_b64 s[48:49], s[18:19]
	s_cbranch_execnz .LBB3_43
; %bb.42:                               ;   in Loop: Header=BB3_3 Depth=1
	s_or_b64 exec, exec, s[48:49]
	v_cmp_gt_i32_e32 vcc, s43, v10
	s_and_saveexec_b64 s[48:49], vcc
	s_cbranch_execz .LBB3_2
	s_branch .LBB3_44
.LBB3_43:                               ;   in Loop: Header=BB3_3 Depth=1
	ds_read_b64 v[2:3], v31
	s_waitcnt lgkmcnt(0)
	v_add_co_u32_e32 v4, vcc, v2, v4
	v_addc_co_u32_e32 v5, vcc, v3, v5, vcc
	s_or_b64 exec, exec, s[48:49]
	v_cmp_gt_i32_e32 vcc, s43, v10
	s_and_saveexec_b64 s[48:49], vcc
	s_cbranch_execz .LBB3_2
.LBB3_44:                               ;   in Loop: Header=BB3_3 Depth=1
	v_lshlrev_b64 v[2:3], 3, v[10:11]
	v_mov_b32_e32 v8, s37
	v_add_co_u32_e32 v2, vcc, s36, v2
	v_addc_co_u32_e32 v3, vcc, v8, v3, vcc
	global_store_dwordx2 v[2:3], v[4:5], off
	s_branch .LBB3_2
.LBB3_45:
	s_endpgm
	.section	.rodata,"a",@progbits
	.p2align	6, 0x0
	.amdhsa_kernel _ZL13MPCdecompressILi32EEvPlS0_PVi
		.amdhsa_group_segment_fixed_size 16392
		.amdhsa_private_segment_fixed_size 0
		.amdhsa_kernarg_size 280
		.amdhsa_user_sgpr_count 6
		.amdhsa_user_sgpr_private_segment_buffer 1
		.amdhsa_user_sgpr_dispatch_ptr 0
		.amdhsa_user_sgpr_queue_ptr 0
		.amdhsa_user_sgpr_kernarg_segment_ptr 1
		.amdhsa_user_sgpr_dispatch_id 0
		.amdhsa_user_sgpr_flat_scratch_init 0
		.amdhsa_user_sgpr_kernarg_preload_length 0
		.amdhsa_user_sgpr_kernarg_preload_offset 0
		.amdhsa_user_sgpr_private_segment_size 0
		.amdhsa_uses_dynamic_stack 0
		.amdhsa_system_sgpr_private_segment_wavefront_offset 0
		.amdhsa_system_sgpr_workgroup_id_x 1
		.amdhsa_system_sgpr_workgroup_id_y 0
		.amdhsa_system_sgpr_workgroup_id_z 0
		.amdhsa_system_sgpr_workgroup_info 0
		.amdhsa_system_vgpr_workitem_id 0
		.amdhsa_next_free_vgpr 46
		.amdhsa_next_free_sgpr 56
		.amdhsa_accum_offset 48
		.amdhsa_reserve_vcc 1
		.amdhsa_reserve_flat_scratch 0
		.amdhsa_float_round_mode_32 0
		.amdhsa_float_round_mode_16_64 0
		.amdhsa_float_denorm_mode_32 3
		.amdhsa_float_denorm_mode_16_64 3
		.amdhsa_dx10_clamp 1
		.amdhsa_ieee_mode 1
		.amdhsa_fp16_overflow 0
		.amdhsa_tg_split 0
		.amdhsa_exception_fp_ieee_invalid_op 0
		.amdhsa_exception_fp_denorm_src 0
		.amdhsa_exception_fp_ieee_div_zero 0
		.amdhsa_exception_fp_ieee_overflow 0
		.amdhsa_exception_fp_ieee_underflow 0
		.amdhsa_exception_fp_ieee_inexact 0
		.amdhsa_exception_int_div_zero 0
	.end_amdhsa_kernel
	.section	.text._ZL13MPCdecompressILi32EEvPlS0_PVi,"axG",@progbits,_ZL13MPCdecompressILi32EEvPlS0_PVi,comdat
.Lfunc_end3:
	.size	_ZL13MPCdecompressILi32EEvPlS0_PVi, .Lfunc_end3-_ZL13MPCdecompressILi32EEvPlS0_PVi
                                        ; -- End function
	.section	.AMDGPU.csdata,"",@progbits
; Kernel info:
; codeLenInByte = 4272
; NumSgprs: 60
; NumVgprs: 46
; NumAgprs: 0
; TotalNumVgprs: 46
; ScratchSize: 0
; MemoryBound: 0
; FloatMode: 240
; IeeeMode: 1
; LDSByteSize: 16392 bytes/workgroup (compile time only)
; SGPRBlocks: 7
; VGPRBlocks: 5
; NumSGPRsForWavesPerEU: 60
; NumVGPRsForWavesPerEU: 46
; AccumOffset: 48
; Occupancy: 8
; WaveLimiterHint : 0
; COMPUTE_PGM_RSRC2:SCRATCH_EN: 0
; COMPUTE_PGM_RSRC2:USER_SGPR: 6
; COMPUTE_PGM_RSRC2:TRAP_HANDLER: 0
; COMPUTE_PGM_RSRC2:TGID_X_EN: 1
; COMPUTE_PGM_RSRC2:TGID_Y_EN: 0
; COMPUTE_PGM_RSRC2:TGID_Z_EN: 0
; COMPUTE_PGM_RSRC2:TIDIG_COMP_CNT: 0
; COMPUTE_PGM_RSRC3_GFX90A:ACCUM_OFFSET: 11
; COMPUTE_PGM_RSRC3_GFX90A:TG_SPLIT: 0
	.text
	.p2alignl 6, 3212836864
	.fill 256, 4, 3212836864
	.type	__hip_cuid_125f2ac01a1d5bdc,@object ; @__hip_cuid_125f2ac01a1d5bdc
	.section	.bss,"aw",@nobits
	.globl	__hip_cuid_125f2ac01a1d5bdc
__hip_cuid_125f2ac01a1d5bdc:
	.byte	0                               ; 0x0
	.size	__hip_cuid_125f2ac01a1d5bdc, 1

	.ident	"AMD clang version 19.0.0git (https://github.com/RadeonOpenCompute/llvm-project roc-6.4.0 25133 c7fe45cf4b819c5991fe208aaa96edf142730f1d)"
	.section	".note.GNU-stack","",@progbits
	.addrsig
	.addrsig_sym __hip_cuid_125f2ac01a1d5bdc
	.amdgpu_metadata
---
amdhsa.kernels:
  - .agpr_count:     0
    .args:
      - .offset:         0
        .size:           4
        .value_kind:     by_value
      - .actual_access:  read_only
        .address_space:  global
        .offset:         8
        .size:           8
        .value_kind:     global_buffer
      - .actual_access:  write_only
        .address_space:  global
        .offset:         16
        .size:           8
        .value_kind:     global_buffer
      - .address_space:  global
        .offset:         24
        .size:           8
        .value_kind:     global_buffer
      - .offset:         32
        .size:           1
        .value_kind:     by_value
      - .offset:         40
        .size:           4
        .value_kind:     hidden_block_count_x
      - .offset:         44
        .size:           4
        .value_kind:     hidden_block_count_y
      - .offset:         48
        .size:           4
        .value_kind:     hidden_block_count_z
      - .offset:         52
        .size:           2
        .value_kind:     hidden_group_size_x
      - .offset:         54
        .size:           2
        .value_kind:     hidden_group_size_y
      - .offset:         56
        .size:           2
        .value_kind:     hidden_group_size_z
      - .offset:         58
        .size:           2
        .value_kind:     hidden_remainder_x
      - .offset:         60
        .size:           2
        .value_kind:     hidden_remainder_y
      - .offset:         62
        .size:           2
        .value_kind:     hidden_remainder_z
      - .offset:         80
        .size:           8
        .value_kind:     hidden_global_offset_x
      - .offset:         88
        .size:           8
        .value_kind:     hidden_global_offset_y
      - .offset:         96
        .size:           8
        .value_kind:     hidden_global_offset_z
      - .offset:         104
        .size:           2
        .value_kind:     hidden_grid_dims
    .group_segment_fixed_size: 16392
    .kernarg_segment_align: 8
    .kernarg_segment_size: 296
    .language:       OpenCL C
    .language_version:
      - 2
      - 0
    .max_flat_workgroup_size: 1024
    .name:           _ZL11MPCcompressILi64EEviPlS0_PVih
    .private_segment_fixed_size: 0
    .sgpr_count:     53
    .sgpr_spill_count: 0
    .symbol:         _ZL11MPCcompressILi64EEviPlS0_PVih.kd
    .uniform_work_group_size: 1
    .uses_dynamic_stack: false
    .vgpr_count:     40
    .vgpr_spill_count: 0
    .wavefront_size: 64
  - .agpr_count:     0
    .args:
      - .offset:         0
        .size:           4
        .value_kind:     by_value
      - .actual_access:  read_only
        .address_space:  global
        .offset:         8
        .size:           8
        .value_kind:     global_buffer
      - .actual_access:  write_only
        .address_space:  global
        .offset:         16
        .size:           8
        .value_kind:     global_buffer
      - .address_space:  global
        .offset:         24
        .size:           8
        .value_kind:     global_buffer
      - .offset:         32
        .size:           1
        .value_kind:     by_value
      - .offset:         40
        .size:           4
        .value_kind:     hidden_block_count_x
      - .offset:         44
        .size:           4
        .value_kind:     hidden_block_count_y
      - .offset:         48
        .size:           4
        .value_kind:     hidden_block_count_z
      - .offset:         52
        .size:           2
        .value_kind:     hidden_group_size_x
      - .offset:         54
        .size:           2
        .value_kind:     hidden_group_size_y
      - .offset:         56
        .size:           2
        .value_kind:     hidden_group_size_z
      - .offset:         58
        .size:           2
        .value_kind:     hidden_remainder_x
      - .offset:         60
        .size:           2
        .value_kind:     hidden_remainder_y
      - .offset:         62
        .size:           2
        .value_kind:     hidden_remainder_z
      - .offset:         80
        .size:           8
        .value_kind:     hidden_global_offset_x
      - .offset:         88
        .size:           8
        .value_kind:     hidden_global_offset_y
      - .offset:         96
        .size:           8
        .value_kind:     hidden_global_offset_z
      - .offset:         104
        .size:           2
        .value_kind:     hidden_grid_dims
    .group_segment_fixed_size: 16392
    .kernarg_segment_align: 8
    .kernarg_segment_size: 296
    .language:       OpenCL C
    .language_version:
      - 2
      - 0
    .max_flat_workgroup_size: 1024
    .name:           _ZL11MPCcompressILi32EEviPlS0_PVih
    .private_segment_fixed_size: 0
    .sgpr_count:     53
    .sgpr_spill_count: 0
    .symbol:         _ZL11MPCcompressILi32EEviPlS0_PVih.kd
    .uniform_work_group_size: 1
    .uses_dynamic_stack: false
    .vgpr_count:     40
    .vgpr_spill_count: 0
    .wavefront_size: 64
  - .agpr_count:     0
    .args:
      - .actual_access:  read_only
        .address_space:  global
        .offset:         0
        .size:           8
        .value_kind:     global_buffer
      - .actual_access:  write_only
        .address_space:  global
        .offset:         8
        .size:           8
        .value_kind:     global_buffer
      - .address_space:  global
        .offset:         16
        .size:           8
        .value_kind:     global_buffer
      - .offset:         24
        .size:           4
        .value_kind:     hidden_block_count_x
      - .offset:         28
        .size:           4
        .value_kind:     hidden_block_count_y
      - .offset:         32
        .size:           4
        .value_kind:     hidden_block_count_z
      - .offset:         36
        .size:           2
        .value_kind:     hidden_group_size_x
      - .offset:         38
        .size:           2
        .value_kind:     hidden_group_size_y
      - .offset:         40
        .size:           2
        .value_kind:     hidden_group_size_z
      - .offset:         42
        .size:           2
        .value_kind:     hidden_remainder_x
      - .offset:         44
        .size:           2
        .value_kind:     hidden_remainder_y
      - .offset:         46
        .size:           2
        .value_kind:     hidden_remainder_z
      - .offset:         64
        .size:           8
        .value_kind:     hidden_global_offset_x
      - .offset:         72
        .size:           8
        .value_kind:     hidden_global_offset_y
      - .offset:         80
        .size:           8
        .value_kind:     hidden_global_offset_z
      - .offset:         88
        .size:           2
        .value_kind:     hidden_grid_dims
    .group_segment_fixed_size: 16392
    .kernarg_segment_align: 8
    .kernarg_segment_size: 280
    .language:       OpenCL C
    .language_version:
      - 2
      - 0
    .max_flat_workgroup_size: 1024
    .name:           _ZL13MPCdecompressILi64EEvPlS0_PVi
    .private_segment_fixed_size: 0
    .sgpr_count:     62
    .sgpr_spill_count: 0
    .symbol:         _ZL13MPCdecompressILi64EEvPlS0_PVi.kd
    .uniform_work_group_size: 1
    .uses_dynamic_stack: false
    .vgpr_count:     46
    .vgpr_spill_count: 0
    .wavefront_size: 64
  - .agpr_count:     0
    .args:
      - .actual_access:  read_only
        .address_space:  global
        .offset:         0
        .size:           8
        .value_kind:     global_buffer
      - .actual_access:  write_only
        .address_space:  global
        .offset:         8
        .size:           8
        .value_kind:     global_buffer
      - .address_space:  global
        .offset:         16
        .size:           8
        .value_kind:     global_buffer
      - .offset:         24
        .size:           4
        .value_kind:     hidden_block_count_x
      - .offset:         28
        .size:           4
        .value_kind:     hidden_block_count_y
      - .offset:         32
        .size:           4
        .value_kind:     hidden_block_count_z
      - .offset:         36
        .size:           2
        .value_kind:     hidden_group_size_x
      - .offset:         38
        .size:           2
        .value_kind:     hidden_group_size_y
      - .offset:         40
        .size:           2
        .value_kind:     hidden_group_size_z
      - .offset:         42
        .size:           2
        .value_kind:     hidden_remainder_x
      - .offset:         44
        .size:           2
        .value_kind:     hidden_remainder_y
      - .offset:         46
        .size:           2
        .value_kind:     hidden_remainder_z
      - .offset:         64
        .size:           8
        .value_kind:     hidden_global_offset_x
      - .offset:         72
        .size:           8
        .value_kind:     hidden_global_offset_y
      - .offset:         80
        .size:           8
        .value_kind:     hidden_global_offset_z
      - .offset:         88
        .size:           2
        .value_kind:     hidden_grid_dims
    .group_segment_fixed_size: 16392
    .kernarg_segment_align: 8
    .kernarg_segment_size: 280
    .language:       OpenCL C
    .language_version:
      - 2
      - 0
    .max_flat_workgroup_size: 1024
    .name:           _ZL13MPCdecompressILi32EEvPlS0_PVi
    .private_segment_fixed_size: 0
    .sgpr_count:     60
    .sgpr_spill_count: 0
    .symbol:         _ZL13MPCdecompressILi32EEvPlS0_PVi.kd
    .uniform_work_group_size: 1
    .uses_dynamic_stack: false
    .vgpr_count:     46
    .vgpr_spill_count: 0
    .wavefront_size: 64
amdhsa.target:   amdgcn-amd-amdhsa--gfx90a
amdhsa.version:
  - 1
  - 2
...

	.end_amdgpu_metadata
